;; amdgpu-corpus repo=ROCm/rocFFT kind=compiled arch=gfx950 opt=O3
	.text
	.amdgcn_target "amdgcn-amd-amdhsa--gfx950"
	.amdhsa_code_object_version 6
	.protected	fft_rtc_back_len450_factors_10_5_3_3_wgs_120_tpt_30_halfLds_sp_ip_CI_unitstride_sbrr_C2R_dirReg ; -- Begin function fft_rtc_back_len450_factors_10_5_3_3_wgs_120_tpt_30_halfLds_sp_ip_CI_unitstride_sbrr_C2R_dirReg
	.globl	fft_rtc_back_len450_factors_10_5_3_3_wgs_120_tpt_30_halfLds_sp_ip_CI_unitstride_sbrr_C2R_dirReg
	.p2align	8
	.type	fft_rtc_back_len450_factors_10_5_3_3_wgs_120_tpt_30_halfLds_sp_ip_CI_unitstride_sbrr_C2R_dirReg,@function
fft_rtc_back_len450_factors_10_5_3_3_wgs_120_tpt_30_halfLds_sp_ip_CI_unitstride_sbrr_C2R_dirReg: ; @fft_rtc_back_len450_factors_10_5_3_3_wgs_120_tpt_30_halfLds_sp_ip_CI_unitstride_sbrr_C2R_dirReg
; %bb.0:
	s_load_dwordx2 s[8:9], s[0:1], 0x50
	s_load_dwordx4 s[4:7], s[0:1], 0x0
	s_load_dwordx2 s[10:11], s[0:1], 0x18
	v_mul_u32_u24_e32 v1, 0x889, v0
	v_lshrrev_b32_e32 v1, 16, v1
	v_lshl_add_u32 v6, s2, 2, v1
	v_mov_b32_e32 v4, 0
	s_waitcnt lgkmcnt(0)
	v_cmp_lt_u64_e64 s[2:3], s[6:7], 2
	v_mov_b32_e32 v7, v4
	s_and_b64 vcc, exec, s[2:3]
	v_mov_b64_e32 v[2:3], 0
	s_cbranch_vccnz .LBB0_8
; %bb.1:
	s_load_dwordx2 s[2:3], s[0:1], 0x10
	s_add_u32 s12, s10, 8
	s_addc_u32 s13, s11, 0
	s_mov_b64 s[14:15], 1
	v_mov_b64_e32 v[2:3], 0
	s_waitcnt lgkmcnt(0)
	s_add_u32 s16, s2, 8
	s_addc_u32 s17, s3, 0
.LBB0_2:                                ; =>This Inner Loop Header: Depth=1
	s_load_dwordx2 s[18:19], s[16:17], 0x0
                                        ; implicit-def: $vgpr8_vgpr9
	s_waitcnt lgkmcnt(0)
	v_or_b32_e32 v5, s19, v7
	v_cmp_ne_u64_e32 vcc, 0, v[4:5]
	s_and_saveexec_b64 s[2:3], vcc
	s_xor_b64 s[20:21], exec, s[2:3]
	s_cbranch_execz .LBB0_4
; %bb.3:                                ;   in Loop: Header=BB0_2 Depth=1
	v_cvt_f32_u32_e32 v5, s18
	v_cvt_f32_u32_e32 v8, s19
	s_sub_u32 s2, 0, s18
	s_subb_u32 s3, 0, s19
	v_fmac_f32_e32 v5, 0x4f800000, v8
	v_rcp_f32_e32 v5, v5
	s_nop 0
	v_mul_f32_e32 v5, 0x5f7ffffc, v5
	v_mul_f32_e32 v8, 0x2f800000, v5
	v_trunc_f32_e32 v8, v8
	v_fmac_f32_e32 v5, 0xcf800000, v8
	v_cvt_u32_f32_e32 v12, v8
	v_cvt_u32_f32_e32 v5, v5
	v_mul_lo_u32 v8, s2, v12
	v_mul_hi_u32 v10, s2, v5
	v_mul_lo_u32 v9, s3, v5
	v_add_u32_e32 v10, v10, v8
	v_mul_lo_u32 v13, s2, v5
	v_add_u32_e32 v14, v10, v9
	v_mul_hi_u32 v8, v5, v13
	v_mul_hi_u32 v11, v5, v14
	v_mul_lo_u32 v10, v5, v14
	v_mov_b32_e32 v9, v4
	v_lshl_add_u64 v[8:9], v[8:9], 0, v[10:11]
	v_mul_hi_u32 v11, v12, v13
	v_mul_lo_u32 v13, v12, v13
	v_add_co_u32_e32 v8, vcc, v8, v13
	v_mul_hi_u32 v10, v12, v14
	s_nop 0
	v_addc_co_u32_e32 v8, vcc, v9, v11, vcc
	v_mov_b32_e32 v9, v4
	s_nop 0
	v_addc_co_u32_e32 v11, vcc, 0, v10, vcc
	v_mul_lo_u32 v10, v12, v14
	v_lshl_add_u64 v[8:9], v[8:9], 0, v[10:11]
	v_add_co_u32_e32 v5, vcc, v5, v8
	v_mul_lo_u32 v10, s2, v5
	s_nop 0
	v_addc_co_u32_e32 v12, vcc, v12, v9, vcc
	v_mul_lo_u32 v8, s2, v12
	v_mul_hi_u32 v9, s2, v5
	v_add_u32_e32 v8, v9, v8
	v_mul_lo_u32 v9, s3, v5
	v_add_u32_e32 v13, v8, v9
	v_mul_hi_u32 v15, v12, v10
	v_mul_lo_u32 v16, v12, v10
	v_mul_hi_u32 v9, v5, v13
	v_mul_lo_u32 v8, v5, v13
	v_mul_hi_u32 v10, v5, v10
	v_mov_b32_e32 v11, v4
	v_lshl_add_u64 v[8:9], v[10:11], 0, v[8:9]
	v_add_co_u32_e32 v8, vcc, v8, v16
	v_mul_hi_u32 v14, v12, v13
	s_nop 0
	v_addc_co_u32_e32 v8, vcc, v9, v15, vcc
	v_mul_lo_u32 v10, v12, v13
	s_nop 0
	v_addc_co_u32_e32 v11, vcc, 0, v14, vcc
	v_mov_b32_e32 v9, v4
	v_lshl_add_u64 v[8:9], v[8:9], 0, v[10:11]
	v_add_co_u32_e32 v5, vcc, v5, v8
	v_mul_hi_u32 v10, v6, v5
	s_nop 0
	v_addc_co_u32_e32 v12, vcc, v12, v9, vcc
	v_mad_u64_u32 v[8:9], s[2:3], v6, v12, 0
	v_mov_b32_e32 v11, v4
	v_lshl_add_u64 v[8:9], v[10:11], 0, v[8:9]
	v_mad_u64_u32 v[10:11], s[2:3], v7, v12, 0
	v_mad_u64_u32 v[12:13], s[2:3], v7, v5, 0
	v_add_co_u32_e32 v5, vcc, v8, v12
	s_nop 1
	v_addc_co_u32_e32 v8, vcc, v9, v13, vcc
	v_mov_b32_e32 v9, v4
	s_nop 0
	v_addc_co_u32_e32 v11, vcc, 0, v11, vcc
	v_lshl_add_u64 v[8:9], v[8:9], 0, v[10:11]
	v_mul_lo_u32 v5, s19, v8
	v_mul_lo_u32 v12, s18, v9
	v_mad_u64_u32 v[10:11], s[2:3], s18, v8, 0
	v_add3_u32 v5, v11, v12, v5
	v_sub_u32_e32 v11, v7, v5
	v_mov_b32_e32 v12, s19
	v_sub_co_u32_e32 v14, vcc, v6, v10
	s_nop 1
	v_subb_co_u32_e64 v10, s[2:3], v11, v12, vcc
	v_subrev_co_u32_e64 v11, s[2:3], s18, v14
	v_subb_co_u32_e32 v5, vcc, v7, v5, vcc
	s_nop 0
	v_subbrev_co_u32_e64 v10, s[2:3], 0, v10, s[2:3]
	v_cmp_le_u32_e64 s[2:3], s19, v10
	v_cmp_le_u32_e32 vcc, s19, v5
	s_nop 0
	v_cndmask_b32_e64 v12, 0, -1, s[2:3]
	v_cmp_le_u32_e64 s[2:3], s18, v11
	s_nop 1
	v_cndmask_b32_e64 v11, 0, -1, s[2:3]
	v_cmp_eq_u32_e64 s[2:3], s19, v10
	s_nop 1
	v_cndmask_b32_e64 v15, v12, v11, s[2:3]
	v_lshl_add_u64 v[10:11], v[8:9], 0, 2
	v_lshl_add_u64 v[12:13], v[8:9], 0, 1
	v_cmp_ne_u32_e64 s[2:3], 0, v15
	s_nop 1
	v_cndmask_b32_e64 v11, v13, v11, s[2:3]
	v_cndmask_b32_e64 v13, 0, -1, vcc
	v_cmp_le_u32_e32 vcc, s18, v14
	s_nop 1
	v_cndmask_b32_e64 v14, 0, -1, vcc
	v_cmp_eq_u32_e32 vcc, s19, v5
	s_nop 1
	v_cndmask_b32_e32 v5, v13, v14, vcc
	v_cmp_ne_u32_e32 vcc, 0, v5
	v_cndmask_b32_e64 v5, v12, v10, s[2:3]
	s_nop 0
	v_cndmask_b32_e32 v9, v9, v11, vcc
	v_cndmask_b32_e32 v8, v8, v5, vcc
.LBB0_4:                                ;   in Loop: Header=BB0_2 Depth=1
	s_andn2_saveexec_b64 s[2:3], s[20:21]
	s_cbranch_execz .LBB0_6
; %bb.5:                                ;   in Loop: Header=BB0_2 Depth=1
	v_cvt_f32_u32_e32 v5, s18
	s_sub_i32 s20, 0, s18
	v_rcp_iflag_f32_e32 v5, v5
	s_nop 0
	v_mul_f32_e32 v5, 0x4f7ffffe, v5
	v_cvt_u32_f32_e32 v5, v5
	v_mul_lo_u32 v8, s20, v5
	v_mul_hi_u32 v8, v5, v8
	v_add_u32_e32 v5, v5, v8
	v_mul_hi_u32 v5, v6, v5
	v_mul_lo_u32 v8, v5, s18
	v_sub_u32_e32 v8, v6, v8
	v_add_u32_e32 v9, 1, v5
	v_subrev_u32_e32 v10, s18, v8
	v_cmp_le_u32_e32 vcc, s18, v8
	s_nop 1
	v_cndmask_b32_e32 v8, v8, v10, vcc
	v_cndmask_b32_e32 v5, v5, v9, vcc
	v_add_u32_e32 v9, 1, v5
	v_cmp_le_u32_e32 vcc, s18, v8
	s_nop 1
	v_cndmask_b32_e32 v8, v5, v9, vcc
	v_mov_b32_e32 v9, v4
.LBB0_6:                                ;   in Loop: Header=BB0_2 Depth=1
	s_or_b64 exec, exec, s[2:3]
	v_mad_u64_u32 v[10:11], s[2:3], v8, s18, 0
	s_load_dwordx2 s[2:3], s[12:13], 0x0
	v_mul_lo_u32 v5, v9, s18
	v_mul_lo_u32 v12, v8, s19
	v_add3_u32 v5, v11, v12, v5
	v_sub_co_u32_e32 v6, vcc, v6, v10
	s_add_u32 s14, s14, 1
	s_nop 0
	v_subb_co_u32_e32 v5, vcc, v7, v5, vcc
	s_addc_u32 s15, s15, 0
	s_waitcnt lgkmcnt(0)
	v_mul_lo_u32 v5, s2, v5
	v_mul_lo_u32 v7, s3, v6
	v_mad_u64_u32 v[2:3], s[2:3], s2, v6, v[2:3]
	s_add_u32 s12, s12, 8
	v_add3_u32 v3, v7, v3, v5
	s_addc_u32 s13, s13, 0
	v_mov_b64_e32 v[6:7], s[6:7]
	s_add_u32 s16, s16, 8
	v_cmp_ge_u64_e32 vcc, s[14:15], v[6:7]
	s_addc_u32 s17, s17, 0
	s_cbranch_vccnz .LBB0_9
; %bb.7:                                ;   in Loop: Header=BB0_2 Depth=1
	v_mov_b64_e32 v[6:7], v[8:9]
	s_branch .LBB0_2
.LBB0_8:
	v_mov_b64_e32 v[8:9], v[6:7]
.LBB0_9:
	s_lshl_b64 s[2:3], s[6:7], 3
	s_add_u32 s2, s10, s2
	s_addc_u32 s3, s11, s3
	s_load_dwordx2 s[6:7], s[2:3], 0x0
	s_load_dwordx2 s[10:11], s[0:1], 0x20
	v_and_b32_e32 v1, 3, v1
	v_mul_u32_u24_e32 v47, 0x1c3, v1
	v_lshlrev_b32_e32 v44, 3, v47
	s_waitcnt lgkmcnt(0)
	v_mad_u64_u32 v[2:3], s[0:1], s6, v8, v[2:3]
	s_mov_b32 s0, 0x8888889
	v_mul_lo_u32 v4, s6, v9
	v_mul_lo_u32 v5, s7, v8
	v_mul_hi_u32 v1, v0, s0
	v_add3_u32 v3, v5, v3, v4
	v_mul_u32_u24_e32 v1, 30, v1
	v_cmp_gt_u64_e32 vcc, s[10:11], v[8:9]
	v_sub_u32_e32 v38, v0, v1
	v_lshl_add_u64 v[36:37], v[2:3], 3, s[8:9]
	s_and_saveexec_b64 s[2:3], vcc
	s_cbranch_execz .LBB0_13
; %bb.10:
	v_mov_b32_e32 v39, 0
	v_lshl_add_u64 v[0:1], v[38:39], 3, v[36:37]
	global_load_dwordx2 v[2:3], v[0:1], off
	global_load_dwordx2 v[4:5], v[0:1], off offset:240
	global_load_dwordx2 v[6:7], v[0:1], off offset:480
	;; [unrolled: 1-line block ×14, first 2 shown]
	v_lshlrev_b32_e32 v0, 3, v38
	v_add3_u32 v0, 0, v44, v0
	v_cmp_eq_u32_e64 s[0:1], 29, v38
	v_add_u32_e32 v1, 0x400, v0
	v_add_u32_e32 v32, 0x800, v0
	s_waitcnt vmcnt(13)
	ds_write2_b64 v0, v[2:3], v[4:5] offset1:30
	s_waitcnt vmcnt(11)
	ds_write2_b64 v0, v[6:7], v[8:9] offset0:60 offset1:90
	s_waitcnt vmcnt(9)
	ds_write2_b64 v0, v[10:11], v[12:13] offset0:120 offset1:150
	;; [unrolled: 2-line block ×6, first 2 shown]
	s_waitcnt vmcnt(0)
	ds_write_b64 v0, v[30:31] offset:3360
	s_and_saveexec_b64 s[6:7], s[0:1]
	s_cbranch_execz .LBB0_12
; %bb.11:
	global_load_dwordx2 v[2:3], v[36:37], off offset:3600
	v_mov_b32_e32 v38, 29
	s_waitcnt vmcnt(0)
	ds_write_b64 v0, v[2:3] offset:3368
.LBB0_12:
	s_or_b64 exec, exec, s[6:7]
.LBB0_13:
	s_or_b64 exec, exec, s[2:3]
	v_lshl_add_u32 v42, v47, 3, 0
	v_lshlrev_b32_e32 v0, 3, v38
	v_add_u32_e32 v43, v42, v0
	s_waitcnt lgkmcnt(0)
	s_barrier
	v_sub_u32_e32 v4, v42, v0
	ds_read_b32 v0, v43
	ds_read_b32 v1, v4 offset:3600
	v_cmp_ne_u32_e64 s[0:1], 0, v38
	s_waitcnt lgkmcnt(0)
	v_add_f32_e32 v2, v1, v0
	v_sub_f32_e32 v3, v0, v1
                                        ; implicit-def: $vgpr0_vgpr1
	s_and_saveexec_b64 s[2:3], s[0:1]
	s_xor_b64 s[0:1], exec, s[2:3]
	s_cbranch_execz .LBB0_15
; %bb.14:
	v_mov_b32_e32 v39, 0
	v_lshl_add_u64 v[0:1], v[38:39], 3, s[4:5]
	global_load_dwordx2 v[6:7], v[0:1], off offset:3520
	ds_read_b32 v5, v4 offset:3604
	ds_read_b32 v11, v43 offset:4
	v_mov_b32_e32 v8, v3
	v_mov_b32_e32 v10, v2
	;; [unrolled: 1-line block ×3, first 2 shown]
	v_mov_b64_e32 v[0:1], v[38:39]
	s_waitcnt lgkmcnt(0)
	v_add_f32_e32 v9, v5, v11
	v_sub_f32_e32 v11, v11, v5
	v_mov_b32_e32 v12, v9
	s_waitcnt vmcnt(0)
	v_pk_mul_f32 v[14:15], v[8:9], v[6:7] op_sel:[0,1]
	v_pk_fma_f32 v[8:9], v[8:9], v[6:7], v[10:11] op_sel:[0,1,0]
	v_mov_b32_e32 v3, v15
	v_mov_b32_e32 v15, v11
	v_pk_fma_f32 v[16:17], v[6:7], v[12:13], v[8:9] neg_lo:[1,0,0] neg_hi:[1,0,0]
	v_pk_fma_f32 v[8:9], v[6:7], v[12:13], v[8:9] op_sel_hi:[0,1,1]
	v_pk_add_f32 v[2:3], v[2:3], v[14:15] neg_lo:[0,1] neg_hi:[0,1]
	v_mov_b32_e32 v17, v9
	v_pk_fma_f32 v[2:3], v[6:7], v[12:13], v[2:3] op_sel_hi:[0,1,1]
	ds_write_b64 v4, v[2:3] offset:3600
	v_mov_b64_e32 v[2:3], v[16:17]
.LBB0_15:
	s_andn2_saveexec_b64 s[0:1], s[0:1]
	s_cbranch_execz .LBB0_17
; %bb.16:
	ds_read_b64 v[0:1], v42 offset:1800
	s_mov_b32 s2, 2.0
	s_mov_b32 s3, -2.0
	s_waitcnt lgkmcnt(0)
	v_pk_mul_f32 v[0:1], v[0:1], s[2:3]
	ds_write_b64 v42, v[0:1] offset:1800
	v_mov_b64_e32 v[0:1], 0
.LBB0_17:
	s_or_b64 exec, exec, s[0:1]
	s_add_u32 s0, s4, 0xdc0
	s_addc_u32 s1, s5, 0
	v_lshl_add_u64 v[0:1], v[0:1], 3, s[0:1]
	global_load_dwordx2 v[6:7], v[0:1], off offset:240
	global_load_dwordx2 v[8:9], v[0:1], off offset:480
	;; [unrolled: 1-line block ×4, first 2 shown]
	ds_write_b64 v43, v[2:3]
	ds_read_b64 v[2:3], v4 offset:3360
	ds_read_b64 v[14:15], v43 offset:240
	global_load_dwordx2 v[16:17], v[0:1], off offset:1200
	v_cmp_gt_u32_e64 s[0:1], 15, v38
	s_waitcnt lgkmcnt(0)
	v_pk_add_f32 v[18:19], v[14:15], v[2:3]
	v_pk_add_f32 v[2:3], v[14:15], v[2:3] neg_lo:[0,1] neg_hi:[0,1]
	v_mov_b32_e32 v14, v19
	v_mov_b32_e32 v15, v2
	;; [unrolled: 1-line block ×3, first 2 shown]
	s_waitcnt vmcnt(4)
	v_pk_mul_f32 v[20:21], v[14:15], v[6:7] op_sel:[0,1]
	s_nop 0
	v_pk_add_f32 v[22:23], v[18:19], v[20:21] op_sel:[0,1] op_sel_hi:[1,0]
	v_mov_b32_e32 v19, v20
	v_mov_b32_e32 v2, v21
	v_pk_fma_f32 v[20:21], v[6:7], v[14:15], v[22:23] neg_lo:[1,0,0] neg_hi:[1,0,0]
	v_pk_fma_f32 v[22:23], v[6:7], v[14:15], v[22:23] op_sel_hi:[0,1,1]
	v_pk_add_f32 v[2:3], v[18:19], v[2:3] neg_lo:[0,1] neg_hi:[0,1]
	v_mov_b32_e32 v21, v23
	v_pk_fma_f32 v[2:3], v[6:7], v[14:15], v[2:3] op_sel_hi:[0,1,1]
	ds_write_b64 v43, v[20:21] offset:240
	ds_write_b64 v4, v[2:3] offset:3360
	ds_read_b64 v[2:3], v4 offset:3120
	ds_read_b64 v[6:7], v43 offset:480
	global_load_dwordx2 v[14:15], v[0:1], off offset:1440
	s_waitcnt lgkmcnt(0)
	v_pk_add_f32 v[18:19], v[6:7], v[2:3]
	v_pk_add_f32 v[2:3], v[6:7], v[2:3] neg_lo:[0,1] neg_hi:[0,1]
	v_mov_b32_e32 v6, v19
	v_mov_b32_e32 v7, v2
	v_mov_b32_e32 v19, v3
	s_waitcnt vmcnt(4)
	v_pk_mul_f32 v[20:21], v[6:7], v[8:9] op_sel:[0,1]
	s_nop 0
	v_pk_add_f32 v[22:23], v[18:19], v[20:21] op_sel:[0,1] op_sel_hi:[1,0]
	v_mov_b32_e32 v19, v20
	v_mov_b32_e32 v2, v21
	v_pk_fma_f32 v[20:21], v[8:9], v[6:7], v[22:23] neg_lo:[1,0,0] neg_hi:[1,0,0]
	v_pk_fma_f32 v[22:23], v[8:9], v[6:7], v[22:23] op_sel_hi:[0,1,1]
	v_pk_add_f32 v[2:3], v[18:19], v[2:3] neg_lo:[0,1] neg_hi:[0,1]
	v_mov_b32_e32 v21, v23
	v_pk_fma_f32 v[2:3], v[8:9], v[6:7], v[2:3] op_sel_hi:[0,1,1]
	ds_write_b64 v43, v[20:21] offset:480
	ds_write_b64 v4, v[2:3] offset:3120
	ds_read_b64 v[2:3], v4 offset:2880
	ds_read_b64 v[6:7], v43 offset:720
	s_waitcnt lgkmcnt(0)
	v_pk_add_f32 v[8:9], v[6:7], v[2:3]
	v_pk_add_f32 v[2:3], v[6:7], v[2:3] neg_lo:[0,1] neg_hi:[0,1]
	v_mov_b32_e32 v6, v9
	v_mov_b32_e32 v7, v2
	v_mov_b32_e32 v9, v3
	s_waitcnt vmcnt(3)
	v_pk_mul_f32 v[18:19], v[6:7], v[10:11] op_sel:[0,1]
	s_nop 0
	v_pk_add_f32 v[20:21], v[8:9], v[18:19] op_sel:[0,1] op_sel_hi:[1,0]
	v_mov_b32_e32 v9, v18
	v_mov_b32_e32 v2, v19
	v_pk_fma_f32 v[18:19], v[10:11], v[6:7], v[20:21] neg_lo:[1,0,0] neg_hi:[1,0,0]
	v_pk_fma_f32 v[20:21], v[10:11], v[6:7], v[20:21] op_sel_hi:[0,1,1]
	v_pk_add_f32 v[2:3], v[8:9], v[2:3] neg_lo:[0,1] neg_hi:[0,1]
	v_mov_b32_e32 v19, v21
	v_pk_fma_f32 v[2:3], v[10:11], v[6:7], v[2:3] op_sel_hi:[0,1,1]
	ds_write_b64 v43, v[18:19] offset:720
	ds_write_b64 v4, v[2:3] offset:2880
	ds_read_b64 v[2:3], v4 offset:2640
	ds_read_b64 v[6:7], v43 offset:960
	;; [unrolled: 21-line block ×4, first 2 shown]
	s_waitcnt lgkmcnt(0)
	v_pk_add_f32 v[8:9], v[6:7], v[2:3]
	v_pk_add_f32 v[2:3], v[6:7], v[2:3] neg_lo:[0,1] neg_hi:[0,1]
	v_mov_b32_e32 v6, v9
	v_mov_b32_e32 v7, v2
	;; [unrolled: 1-line block ×3, first 2 shown]
	s_waitcnt vmcnt(0)
	v_pk_mul_f32 v[10:11], v[6:7], v[14:15] op_sel:[0,1]
	s_nop 0
	v_pk_add_f32 v[12:13], v[8:9], v[10:11] op_sel:[0,1] op_sel_hi:[1,0]
	v_mov_b32_e32 v9, v10
	v_mov_b32_e32 v2, v11
	v_pk_fma_f32 v[10:11], v[14:15], v[6:7], v[12:13] neg_lo:[1,0,0] neg_hi:[1,0,0]
	v_pk_fma_f32 v[12:13], v[14:15], v[6:7], v[12:13] op_sel_hi:[0,1,1]
	v_pk_add_f32 v[2:3], v[8:9], v[2:3] neg_lo:[0,1] neg_hi:[0,1]
	v_mov_b32_e32 v11, v13
	v_pk_fma_f32 v[2:3], v[14:15], v[6:7], v[2:3] op_sel_hi:[0,1,1]
	ds_write_b64 v43, v[10:11] offset:1440
	ds_write_b64 v4, v[2:3] offset:2160
	s_and_saveexec_b64 s[2:3], s[0:1]
	s_cbranch_execz .LBB0_19
; %bb.18:
	global_load_dwordx2 v[0:1], v[0:1], off offset:1680
	ds_read_b64 v[2:3], v4 offset:1920
	ds_read_b64 v[6:7], v43 offset:1680
	s_waitcnt lgkmcnt(0)
	v_pk_add_f32 v[8:9], v[6:7], v[2:3]
	v_pk_add_f32 v[2:3], v[6:7], v[2:3] neg_lo:[0,1] neg_hi:[0,1]
	v_mov_b32_e32 v6, v9
	v_mov_b32_e32 v7, v2
	;; [unrolled: 1-line block ×3, first 2 shown]
	s_waitcnt vmcnt(0)
	v_pk_mul_f32 v[10:11], v[6:7], v[0:1] op_sel:[0,1]
	s_nop 0
	v_pk_add_f32 v[12:13], v[8:9], v[10:11] op_sel:[0,1] op_sel_hi:[1,0]
	v_mov_b32_e32 v9, v10
	v_mov_b32_e32 v2, v11
	v_pk_fma_f32 v[10:11], v[0:1], v[6:7], v[12:13] neg_lo:[1,0,0] neg_hi:[1,0,0]
	v_pk_fma_f32 v[12:13], v[0:1], v[6:7], v[12:13] op_sel_hi:[0,1,1]
	v_pk_add_f32 v[2:3], v[8:9], v[2:3] neg_lo:[0,1] neg_hi:[0,1]
	v_mov_b32_e32 v11, v13
	v_pk_fma_f32 v[0:1], v[0:1], v[6:7], v[2:3] op_sel_hi:[0,1,1]
	ds_write_b64 v43, v[10:11] offset:1680
	ds_write_b64 v4, v[0:1] offset:1920
.LBB0_19:
	s_or_b64 exec, exec, s[2:3]
	v_lshl_add_u32 v0, v38, 3, 0
	v_add_u32_e32 v39, v0, v44
	v_add_u32_e32 v45, 0x400, v39
	s_waitcnt lgkmcnt(0)
	s_barrier
	s_barrier
	ds_read2_b64 v[0:3], v39 offset0:30 offset1:45
	ds_read2_b64 v[24:27], v39 offset0:75 offset1:90
	;; [unrolled: 1-line block ×6, first 2 shown]
	v_add_u32_e32 v46, 0x800, v39
	ds_read2_b64 v[32:35], v46 offset0:89 offset1:104
	ds_read_b64 v[50:51], v43
	ds_read2_b64 v[16:19], v46 offset0:44 offset1:59
	ds_read2_b64 v[12:15], v46 offset0:134 offset1:149
	s_mov_b32 s7, 0x3f737871
	s_mov_b32 s2, 0x3e9e377a
	s_waitcnt lgkmcnt(4)
	v_pk_add_f32 v[48:49], v[22:23], v[30:31]
	s_waitcnt lgkmcnt(3)
	v_pk_add_f32 v[52:53], v[26:27], v[34:35] neg_lo:[0,1] neg_hi:[0,1]
	s_mov_b32 s6, s7
	s_mov_b32 s3, 0x3f167918
	s_waitcnt lgkmcnt(2)
	v_pk_fma_f32 v[48:49], v[48:49], 0.5, v[50:51] op_sel_hi:[1,0,1] neg_lo:[1,0,0] neg_hi:[1,0,0]
	v_pk_mul_f32 v[54:55], v[52:53], s[6:7] op_sel_hi:[1,0]
	v_pk_add_f32 v[56:57], v[22:23], v[30:31] neg_lo:[0,1] neg_hi:[0,1]
	s_mov_b32 s10, s3
	v_pk_add_f32 v[60:61], v[26:27], v[22:23] neg_lo:[0,1] neg_hi:[0,1]
	v_pk_add_f32 v[62:63], v[34:35], v[30:31] neg_lo:[0,1] neg_hi:[0,1]
	v_pk_mul_f32 v[58:59], v[56:57], s[10:11] op_sel_hi:[1,0]
	v_pk_add_f32 v[60:61], v[60:61], v[62:63]
	v_pk_add_f32 v[62:63], v[48:49], v[54:55] op_sel:[0,1] op_sel_hi:[1,0] neg_lo:[0,1] neg_hi:[0,1]
	v_pk_add_f32 v[48:49], v[48:49], v[54:55] op_sel:[0,1] op_sel_hi:[1,0]
	s_waitcnt lgkmcnt(0)
	v_pk_add_f32 v[64:65], v[6:7], v[14:15] neg_lo:[0,1] neg_hi:[0,1]
	v_pk_add_f32 v[54:55], v[48:49], v[58:59] op_sel:[0,1] op_sel_hi:[1,0]
	v_pk_add_f32 v[58:59], v[62:63], v[58:59] op_sel:[0,1] op_sel_hi:[1,0] neg_lo:[0,1] neg_hi:[0,1]
	v_pk_add_f32 v[48:49], v[6:7], v[10:11] neg_lo:[0,1] neg_hi:[0,1]
	v_pk_add_f32 v[62:63], v[14:15], v[18:19] neg_lo:[0,1] neg_hi:[0,1]
	v_pk_mul_f32 v[66:67], v[64:65], s[6:7] op_sel_hi:[1,0]
	v_pk_add_f32 v[62:63], v[48:49], v[62:63]
	v_pk_add_f32 v[48:49], v[10:11], v[18:19]
	s_mov_b32 s8, 0x3f4f1bbd
	v_pk_fma_f32 v[48:49], v[48:49], 0.5, v[2:3] op_sel_hi:[1,0,1] neg_lo:[1,0,0] neg_hi:[1,0,0]
	v_pk_add_f32 v[76:77], v[2:3], v[6:7]
	v_pk_add_f32 v[68:69], v[48:49], v[66:67] op_sel:[0,1] op_sel_hi:[1,0]
	v_pk_add_f32 v[48:49], v[48:49], v[66:67] op_sel:[0,1] op_sel_hi:[1,0] neg_lo:[0,1] neg_hi:[0,1]
	v_pk_add_f32 v[66:67], v[10:11], v[18:19] neg_lo:[0,1] neg_hi:[0,1]
	v_pk_add_f32 v[76:77], v[76:77], v[10:11]
	v_pk_mul_f32 v[70:71], v[66:67], s[10:11] op_sel_hi:[1,0]
	v_pk_add_f32 v[76:77], v[76:77], v[18:19]
	v_pk_add_f32 v[68:69], v[70:71], v[68:69] op_sel:[1,0] op_sel_hi:[0,1]
	v_pk_add_f32 v[70:71], v[48:49], v[70:71] op_sel:[0,1] op_sel_hi:[1,0] neg_lo:[0,1] neg_hi:[0,1]
	v_pk_fma_f32 v[72:73], v[62:63], s[2:3], v[68:69] op_sel_hi:[1,0,1]
	v_mov_b32_e32 v68, v70
	v_pk_fma_f32 v[48:49], v[62:63], s[2:3], v[68:69] op_sel_hi:[1,0,1]
	v_mov_b32_e32 v78, v58
	v_pk_mul_f32 v[68:69], v[48:49], s[10:11] op_sel_hi:[1,0]
	v_mov_b32_e32 v79, v55
	v_pk_fma_f32 v[74:75], v[48:49], s[8:9], v[68:69] op_sel:[0,0,1] op_sel_hi:[1,0,0] neg_lo:[0,0,1] neg_hi:[0,0,1]
	v_pk_fma_f32 v[48:49], v[48:49], s[8:9], v[68:69] op_sel:[0,0,1] op_sel_hi:[1,0,0]
	v_pk_add_f32 v[68:69], v[50:51], v[26:27]
	v_mul_u32_u24_e32 v48, 10, v38
	v_pk_add_f32 v[68:69], v[68:69], v[22:23]
	v_mov_b32_e32 v75, v49
	v_pk_add_f32 v[68:69], v[68:69], v[30:31]
	v_lshl_add_u32 v48, v48, 3, 0
	v_pk_add_f32 v[68:69], v[68:69], v[34:35]
	v_pk_add_f32 v[76:77], v[76:77], v[14:15]
	v_pk_fma_f32 v[78:79], v[60:61], s[2:3], v[78:79] op_sel_hi:[1,0,1]
	v_add_u32_e32 v49, v48, v44
	v_pk_add_f32 v[80:81], v[68:69], v[76:77]
	v_pk_add_f32 v[82:83], v[78:79], v[74:75]
	ds_read_b64 v[40:41], v39 offset:3480
	s_waitcnt lgkmcnt(0)
	s_barrier
	ds_write2_b64 v49, v[80:81], v[82:83] offset1:1
	v_mov_b32_e32 v80, v10
	v_mov_b32_e32 v81, v18
	;; [unrolled: 1-line block ×4, first 2 shown]
	v_pk_add_f32 v[80:81], v[80:81], v[82:83] neg_lo:[0,1] neg_hi:[0,1]
	v_mov_b32_e32 v18, v7
	v_mov_b32_e32 v10, v81
	v_pk_add_f32 v[80:81], v[80:81], v[10:11]
	v_mov_b32_e32 v10, v11
	v_mov_b32_e32 v11, v19
	;; [unrolled: 1-line block ×3, first 2 shown]
	v_pk_add_f32 v[10:11], v[10:11], v[18:19] neg_lo:[0,1] neg_hi:[0,1]
	v_pk_add_f32 v[6:7], v[6:7], v[14:15]
	v_mov_b32_e32 v18, v11
	v_pk_add_f32 v[10:11], v[10:11], v[18:19]
	v_fma_f32 v55, -0.5, v6, v2
	v_fma_f32 v58, -0.5, v7, v3
	v_pk_add_f32 v[2:3], v[26:27], v[34:35]
	v_pk_add_f32 v[6:7], v[22:23], v[26:27] neg_lo:[0,1] neg_hi:[0,1]
	v_pk_add_f32 v[14:15], v[30:31], v[34:35] neg_lo:[0,1] neg_hi:[0,1]
	v_mov_b32_e32 v11, v64
	v_pk_fma_f32 v[2:3], v[2:3], 0.5, v[50:51] op_sel_hi:[1,0,1] neg_lo:[1,0,0] neg_hi:[1,0,0]
	v_pk_add_f32 v[6:7], v[6:7], v[14:15]
	v_pk_mul_f32 v[14:15], v[56:57], s[6:7] op_sel_hi:[1,0]
	v_mov_b32_e32 v81, v65
	v_fmamk_f32 v65, v66, 0xbf737871, v58
	v_fmac_f32_e32 v58, 0x3f737871, v66
	v_pk_add_f32 v[18:19], v[2:3], v[14:15] op_sel:[0,1] op_sel_hi:[1,0]
	v_pk_add_f32 v[2:3], v[2:3], v[14:15] op_sel:[0,1] op_sel_hi:[1,0] neg_lo:[0,1] neg_hi:[0,1]
	v_pk_mul_f32 v[14:15], v[52:53], s[10:11] op_sel_hi:[1,0]
	v_pk_mul_f32 v[10:11], v[10:11], s[2:3]
	v_fmamk_f32 v64, v67, 0x3f737871, v55
	v_fmac_f32_e32 v55, 0xbf737871, v67
	v_pk_add_f32 v[2:3], v[2:3], v[14:15] op_sel:[0,1] op_sel_hi:[1,0]
	v_pk_add_f32 v[14:15], v[18:19], v[14:15] op_sel:[0,1] op_sel_hi:[1,0] neg_lo:[0,1] neg_hi:[0,1]
	v_pk_mul_f32 v[18:19], v[80:81], s[2:3]
	v_add_f32_e32 v22, v11, v65
	v_sub_f32_e32 v11, v58, v11
	v_sub_f32_e32 v26, v64, v19
	s_mov_b32 s10, s7
	s_mov_b32 s11, s2
	v_add_f32_e32 v22, v10, v22
	v_add_f32_e32 v19, v19, v55
	;; [unrolled: 1-line block ×3, first 2 shown]
	s_mov_b32 s6, s2
	v_pk_mul_f32 v[22:23], v[22:23], s[10:11] op_sel_hi:[0,1]
	v_add_f32_e32 v26, v18, v26
	v_add_f32_e32 v18, v18, v19
	s_mov_b32 s12, 0xbe9e377a
	s_mov_b32 s13, s7
	v_pk_mul_f32 v[10:11], v[10:11], s[10:11] op_sel_hi:[0,1]
	v_pk_fma_f32 v[30:31], v[26:27], s[6:7], v[22:23] neg_lo:[0,0,1] neg_hi:[0,0,1]
	v_pk_fma_f32 v[22:23], v[26:27], s[6:7], v[22:23] op_sel_hi:[0,1,1]
	v_pk_fma_f32 v[10:11], v[18:19], s[12:13], v[10:11] op_sel_hi:[0,1,1] neg_lo:[0,0,1] neg_hi:[0,0,1]
	v_mov_b32_e32 v18, v14
	v_mov_b32_e32 v19, v3
	;; [unrolled: 1-line block ×4, first 2 shown]
	v_pk_fma_f32 v[14:15], v[6:7], s[2:3], v[18:19] op_sel_hi:[1,0,1]
	v_pk_fma_f32 v[2:3], v[6:7], s[2:3], v[2:3] op_sel_hi:[1,0,1]
	v_pk_add_f32 v[6:7], v[14:15], v[30:31]
	v_pk_add_f32 v[18:19], v[2:3], v[10:11]
	s_mov_b32 s14, 0xbf4f1bbd
	ds_write2_b64 v49, v[6:7], v[18:19] offset0:2 offset1:3
	v_pk_fma_f32 v[6:7], v[62:63], s[2:3], v[70:71] op_sel_hi:[1,0,1]
	s_mov_b32 s16, 0xbf167918
	s_mov_b32 s17, s14
	v_mov_b32_e32 v55, v59
	s_mov_b32 s15, s3
	v_pk_mul_f32 v[6:7], v[6:7], s[16:17] op_sel:[1,0]
	v_pk_fma_f32 v[18:19], v[60:61], s[2:3], v[54:55] op_sel_hi:[1,0,1]
	v_pk_fma_f32 v[6:7], v[72:73], s[14:15], v[6:7] op_sel_hi:[0,1,1]
	v_pk_add_f32 v[22:23], v[68:69], v[76:77] neg_lo:[0,1] neg_hi:[0,1]
	v_pk_add_f32 v[26:27], v[18:19], v[6:7]
	ds_write2_b64 v49, v[26:27], v[22:23] offset0:4 offset1:5
	v_pk_add_f32 v[22:23], v[78:79], v[74:75] neg_lo:[0,1] neg_hi:[0,1]
	v_pk_add_f32 v[14:15], v[14:15], v[30:31] neg_lo:[0,1] neg_hi:[0,1]
	;; [unrolled: 1-line block ×4, first 2 shown]
	ds_write2_b64 v49, v[22:23], v[14:15] offset0:6 offset1:7
	ds_write2_b64 v49, v[2:3], v[6:7] offset0:8 offset1:9
	s_and_saveexec_b64 s[18:19], s[0:1]
	s_cbranch_execz .LBB0_21
; %bb.20:
	v_mov_b32_e32 v2, v28
	v_mov_b32_e32 v3, v32
	;; [unrolled: 1-line block ×4, first 2 shown]
	v_pk_add_f32 v[2:3], v[2:3], v[6:7] neg_lo:[0,1] neg_hi:[0,1]
	v_mov_b32_e32 v10, v29
	v_mov_b32_e32 v6, v3
	;; [unrolled: 1-line block ×5, first 2 shown]
	v_pk_add_f32 v[50:51], v[4:5], v[8:9] neg_lo:[0,1] neg_hi:[0,1]
	v_pk_add_f32 v[52:53], v[12:13], v[16:17] neg_lo:[0,1] neg_hi:[0,1]
	v_pk_add_f32 v[2:3], v[2:3], v[6:7]
	v_pk_add_f32 v[6:7], v[20:21], v[40:41]
	v_pk_add_f32 v[10:11], v[10:11], v[14:15] neg_lo:[0,1] neg_hi:[0,1]
	v_pk_add_f32 v[50:51], v[50:51], v[52:53]
	v_pk_add_f32 v[52:53], v[28:29], v[32:33]
	v_fma_f32 v62, -0.5, v6, v24
	v_mov_b32_e32 v6, v11
	v_fma_f32 v63, -0.5, v7, v25
	v_pk_add_f32 v[14:15], v[24:25], v[20:21]
	v_pk_fma_f32 v[24:25], v[52:53], 0.5, v[24:25] op_sel_hi:[1,0,1] neg_lo:[1,0,0] neg_hi:[1,0,0]
	v_pk_add_f32 v[52:53], v[20:21], v[40:41] neg_lo:[0,1] neg_hi:[0,1]
	v_pk_add_f32 v[10:11], v[10:11], v[6:7]
	s_mov_b32 s0, s7
	v_pk_add_f32 v[58:59], v[28:29], v[32:33] neg_lo:[0,1] neg_hi:[0,1]
	v_mov_b32_e32 v3, v53
	v_pk_add_f32 v[14:15], v[14:15], v[28:29]
	s_mov_b32 s20, s3
	v_pk_mul_f32 v[54:55], v[52:53], s[0:1] op_sel_hi:[1,0]
	v_pk_mul_f32 v[2:3], v[2:3], s[2:3]
	v_fmamk_f32 v11, v59, 0xbf737871, v62
	v_pk_add_f32 v[14:15], v[14:15], v[32:33]
	v_pk_add_f32 v[56:57], v[24:25], v[54:55] op_sel:[0,1] op_sel_hi:[1,0]
	v_pk_mul_f32 v[60:61], v[58:59], s[20:21] op_sel_hi:[1,0]
	v_pk_add_f32 v[20:21], v[20:21], v[28:29] neg_lo:[0,1] neg_hi:[0,1]
	v_pk_add_f32 v[28:29], v[40:41], v[32:33] neg_lo:[0,1] neg_hi:[0,1]
	v_pk_add_f32 v[24:25], v[24:25], v[54:55] op_sel:[0,1] op_sel_hi:[1,0] neg_lo:[0,1] neg_hi:[0,1]
	v_add_f32_e32 v11, v3, v11
	v_pk_add_f32 v[14:15], v[14:15], v[40:41]
	v_pk_add_f32 v[20:21], v[20:21], v[28:29]
	v_pk_add_f32 v[24:25], v[24:25], v[60:61] op_sel:[0,1] op_sel_hi:[1,0] neg_lo:[0,1] neg_hi:[0,1]
	v_add_f32_e32 v40, v2, v11
	v_mov_b32_e32 v11, v52
	v_pk_fma_f32 v[32:33], v[20:21], s[2:3], v[24:25] op_sel_hi:[1,0,1]
	v_fmamk_f32 v25, v58, 0x3f737871, v63
	v_pk_mul_f32 v[10:11], v[10:11], s[2:3]
	v_pk_add_f32 v[6:7], v[0:1], v[4:5]
	v_pk_add_f32 v[22:23], v[8:9], v[16:17]
	v_pk_add_f32 v[26:27], v[4:5], v[12:13] neg_lo:[0,1] neg_hi:[0,1]
	v_pk_add_f32 v[56:57], v[60:61], v[56:57] op_sel:[1,0] op_sel_hi:[0,1]
	v_sub_f32_e32 v25, v25, v11
	v_fmac_f32_e32 v62, 0x3f737871, v59
	v_pk_add_f32 v[6:7], v[6:7], v[8:9]
	v_pk_fma_f32 v[22:23], v[22:23], 0.5, v[0:1] op_sel_hi:[1,0,1] neg_lo:[1,0,0] neg_hi:[1,0,0]
	v_pk_mul_f32 v[30:31], v[26:27], s[0:1] op_sel_hi:[1,0]
	v_pk_add_f32 v[34:35], v[8:9], v[16:17] neg_lo:[0,1] neg_hi:[0,1]
	v_add_f32_e32 v52, v10, v25
	v_sub_f32_e32 v3, v62, v3
	v_fmac_f32_e32 v63, 0xbf737871, v58
	v_mov_b32_e32 v25, v57
	v_pk_add_f32 v[8:9], v[8:9], v[4:5] neg_lo:[0,1] neg_hi:[0,1]
	v_pk_add_f32 v[4:5], v[4:5], v[12:13]
	v_lshl_add_u32 v47, v47, 3, v48
	v_pk_add_f32 v[6:7], v[6:7], v[16:17]
	v_pk_mul_f32 v[48:49], v[34:35], s[20:21] op_sel_hi:[1,0]
	v_pk_fma_f32 v[28:29], v[20:21], s[2:3], v[56:57] op_sel_hi:[1,0,1]
	v_add_f32_e32 v2, v2, v3
	v_add_f32_e32 v3, v11, v63
	v_pk_fma_f32 v[20:21], v[20:21], s[2:3], v[24:25] op_sel_hi:[1,0,1]
	v_pk_add_f32 v[24:25], v[22:23], v[30:31] op_sel:[0,1] op_sel_hi:[1,0] neg_lo:[0,1] neg_hi:[0,1]
	v_pk_add_f32 v[22:23], v[22:23], v[30:31] op_sel:[0,1] op_sel_hi:[1,0]
	v_pk_add_f32 v[16:17], v[16:17], v[12:13] neg_lo:[0,1] neg_hi:[0,1]
	v_pk_fma_f32 v[0:1], v[4:5], 0.5, v[0:1] op_sel_hi:[1,0,1] neg_lo:[1,0,0] neg_hi:[1,0,0]
	v_pk_mul_f32 v[4:5], v[34:35], s[0:1] op_sel_hi:[1,0]
	v_pk_add_f32 v[6:7], v[6:7], v[12:13]
	v_add_f32_e32 v10, v10, v3
	v_pk_add_f32 v[22:23], v[22:23], v[48:49] op_sel:[0,1] op_sel_hi:[1,0]
	v_pk_add_f32 v[24:25], v[24:25], v[48:49] op_sel:[0,1] op_sel_hi:[1,0] neg_lo:[0,1] neg_hi:[0,1]
	v_pk_mul_f32 v[48:49], v[20:21], s[20:21] op_sel_hi:[1,0]
	v_pk_add_f32 v[8:9], v[8:9], v[16:17]
	v_pk_mul_f32 v[12:13], v[26:27], s[20:21] op_sel_hi:[1,0]
	v_pk_add_f32 v[16:17], v[0:1], v[4:5] op_sel:[0,1] op_sel_hi:[1,0]
	v_pk_add_f32 v[0:1], v[0:1], v[4:5] op_sel:[0,1] op_sel_hi:[1,0] neg_lo:[0,1] neg_hi:[0,1]
	v_mov_b32_e32 v30, v24
	v_mov_b32_e32 v31, v23
	v_pk_fma_f32 v[54:55], v[20:21], s[8:9], v[48:49] op_sel:[0,0,1] op_sel_hi:[1,0,0] neg_lo:[0,0,1] neg_hi:[0,0,1]
	v_pk_fma_f32 v[20:21], v[20:21], s[8:9], v[48:49] op_sel:[0,0,1] op_sel_hi:[1,0,0]
	v_pk_add_f32 v[0:1], v[0:1], v[12:13] op_sel:[0,1] op_sel_hi:[1,0]
	v_pk_add_f32 v[4:5], v[16:17], v[12:13] op_sel:[0,1] op_sel_hi:[1,0] neg_lo:[0,1] neg_hi:[0,1]
	v_pk_mul_f32 v[10:11], v[10:11], s[10:11] op_sel_hi:[0,1]
	v_pk_fma_f32 v[30:31], v[50:51], s[2:3], v[30:31] op_sel_hi:[1,0,1]
	v_mov_b32_e32 v55, v21
	v_mov_b32_e32 v12, v4
	;; [unrolled: 1-line block ×3, first 2 shown]
	v_pk_fma_f32 v[16:17], v[2:3], s[6:7], v[10:11] neg_lo:[0,0,1] neg_hi:[0,0,1]
	v_pk_fma_f32 v[2:3], v[2:3], s[6:7], v[10:11] op_sel_hi:[0,1,1]
	v_pk_mul_f32 v[10:11], v[52:53], s[10:11] op_sel_hi:[0,1]
	v_mov_b32_e32 v1, v5
	v_add_u32_e32 v64, 0x960, v47
	v_pk_add_f32 v[18:19], v[6:7], v[14:15]
	v_pk_add_f32 v[20:21], v[30:31], v[54:55]
	v_pk_fma_f32 v[12:13], v[8:9], s[2:3], v[12:13] op_sel_hi:[1,0,1]
	v_mov_b32_e32 v17, v3
	v_pk_fma_f32 v[10:11], v[40:41], s[12:13], v[10:11] op_sel_hi:[0,1,1] neg_lo:[0,0,1] neg_hi:[0,0,1]
	v_pk_fma_f32 v[0:1], v[8:9], s[2:3], v[0:1] op_sel_hi:[1,0,1]
	ds_write2_b64 v64, v[18:19], v[20:21] offset1:1
	v_add_u32_e32 v18, 0x970, v47
	v_pk_add_f32 v[2:3], v[12:13], v[16:17]
	v_pk_add_f32 v[4:5], v[0:1], v[10:11]
	ds_write2_b64 v18, v[2:3], v[4:5] offset1:1
	v_mov_b32_e32 v23, v25
	v_pk_mul_f32 v[4:5], v[32:33], s[16:17] op_sel:[1,0]
	v_pk_fma_f32 v[2:3], v[50:51], s[2:3], v[22:23] op_sel_hi:[1,0,1]
	v_pk_fma_f32 v[4:5], v[28:29], s[14:15], v[4:5] op_sel_hi:[0,1,1]
	v_add_u32_e32 v18, 0x980, v47
	v_pk_add_f32 v[8:9], v[2:3], v[4:5]
	v_pk_add_f32 v[6:7], v[6:7], v[14:15] neg_lo:[0,1] neg_hi:[0,1]
	ds_write2_b64 v18, v[8:9], v[6:7] offset1:1
	v_add_u32_e32 v14, 0x990, v47
	v_pk_add_f32 v[6:7], v[30:31], v[54:55] neg_lo:[0,1] neg_hi:[0,1]
	v_pk_add_f32 v[8:9], v[12:13], v[16:17] neg_lo:[0,1] neg_hi:[0,1]
	ds_write2_b64 v14, v[6:7], v[8:9] offset1:1
	v_add_u32_e32 v6, 0x9a0, v47
	v_pk_add_f32 v[0:1], v[0:1], v[10:11] neg_lo:[0,1] neg_hi:[0,1]
	v_pk_add_f32 v[2:3], v[2:3], v[4:5] neg_lo:[0,1] neg_hi:[0,1]
	ds_write2_b64 v6, v[0:1], v[2:3] offset1:1
.LBB0_21:
	s_or_b64 exec, exec, s[18:19]
	s_movk_i32 s0, 0xcd
	v_add_u32_e32 v5, 30, v38
	v_mul_lo_u16_sdwa v0, v38, s0 dst_sel:DWORD dst_unused:UNUSED_PAD src0_sel:BYTE_0 src1_sel:DWORD
	v_add_u32_e32 v4, 60, v38
	v_lshrrev_b16_e32 v40, 11, v0
	v_mul_lo_u16_sdwa v0, v5, s0 dst_sel:DWORD dst_unused:UNUSED_PAD src0_sel:BYTE_0 src1_sel:DWORD
	v_lshrrev_b16_e32 v41, 11, v0
	v_mul_lo_u16_sdwa v0, v4, s0 dst_sel:DWORD dst_unused:UNUSED_PAD src0_sel:BYTE_0 src1_sel:DWORD
	v_lshrrev_b16_e32 v47, 11, v0
	v_mul_lo_u16_e32 v0, 10, v47
	v_mov_b32_e32 v18, 5
	v_mul_lo_u16_e32 v10, 10, v41
	v_sub_u16_e32 v68, v4, v0
	v_lshlrev_b32_sdwa v11, v18, v68 dst_sel:DWORD dst_unused:UNUSED_PAD src0_sel:DWORD src1_sel:BYTE_0
	v_sub_u16_e32 v69, v5, v10
	s_waitcnt lgkmcnt(0)
	s_barrier
	global_load_dwordx4 v[0:3], v11, s[4:5] offset:16
	global_load_dwordx4 v[6:9], v11, s[4:5]
	v_lshlrev_b32_sdwa v19, v18, v69 dst_sel:DWORD dst_unused:UNUSED_PAD src0_sel:DWORD src1_sel:BYTE_0
	global_load_dwordx4 v[10:13], v19, s[4:5] offset:16
	global_load_dwordx4 v[14:17], v19, s[4:5]
	v_mul_lo_u16_e32 v19, 10, v40
	v_sub_u16_e32 v70, v38, v19
	v_lshlrev_b32_sdwa v26, v18, v70 dst_sel:DWORD dst_unused:UNUSED_PAD src0_sel:DWORD src1_sel:BYTE_0
	global_load_dwordx4 v[18:21], v26, s[4:5]
	global_load_dwordx4 v[22:25], v26, s[4:5] offset:16
	ds_read2_b64 v[26:29], v39 offset0:90 offset1:120
	ds_read2_b64 v[30:33], v39 offset0:150 offset1:180
	;; [unrolled: 1-line block ×3, first 2 shown]
	s_movk_i32 s0, 0x190
	v_mov_b32_e32 v73, 3
	ds_read2_b64 v[52:55], v39 offset0:30 offset1:60
	ds_read2_b64 v[56:59], v39 offset0:210 offset1:240
	;; [unrolled: 1-line block ×4, first 2 shown]
	ds_read_b64 v[34:35], v43
	v_mad_u32_u24 v40, v40, s0, 0
	v_mad_u32_u24 v41, v41, s0, 0
	;; [unrolled: 1-line block ×3, first 2 shown]
	v_lshlrev_b32_sdwa v70, v73, v70 dst_sel:DWORD dst_unused:UNUSED_PAD src0_sel:DWORD src1_sel:BYTE_0
	v_lshlrev_b32_sdwa v69, v73, v69 dst_sel:DWORD dst_unused:UNUSED_PAD src0_sel:DWORD src1_sel:BYTE_0
	;; [unrolled: 1-line block ×3, first 2 shown]
	v_add3_u32 v77, v40, v70, v44
	v_add3_u32 v81, v41, v69, v44
	;; [unrolled: 1-line block ×3, first 2 shown]
	s_mov_b32 s0, s7
	s_mov_b32 s6, s3
	s_waitcnt lgkmcnt(0)
	s_barrier
	s_waitcnt vmcnt(5)
	v_pk_mul_f32 v[70:71], v[60:61], v[0:1] op_sel:[0,1]
	s_waitcnt vmcnt(4)
	v_pk_mul_f32 v[40:41], v[30:31], v[6:7] op_sel:[0,1]
	v_mov_b32_e32 v68, v9
	s_waitcnt vmcnt(3)
	v_pk_mul_f32 v[78:79], v[50:51], v[10:11] op_sel:[0,1]
	v_mov_b32_e32 v80, v13
	v_pk_fma_f32 v[84:85], v[30:31], v[6:7], v[40:41] op_sel:[0,0,1] op_sel_hi:[1,1,0]
	v_pk_fma_f32 v[6:7], v[30:31], v[6:7], v[40:41] op_sel:[0,0,1] op_sel_hi:[1,0,0] neg_lo:[0,0,1] neg_hi:[0,0,1]
	v_pk_mul_f32 v[30:31], v[58:59], v[68:69] op_sel_hi:[1,0]
	s_waitcnt vmcnt(2)
	v_pk_mul_f32 v[74:75], v[28:29], v[14:15] op_sel:[0,1]
	v_pk_fma_f32 v[68:69], v[58:59], v[8:9], v[30:31] op_sel:[0,0,1] op_sel_hi:[1,1,0]
	v_pk_fma_f32 v[8:9], v[58:59], v[8:9], v[30:31] op_sel:[0,0,1] op_sel_hi:[1,0,0] neg_lo:[0,0,1] neg_hi:[0,0,1]
	v_pk_fma_f32 v[58:59], v[50:51], v[10:11], v[78:79] op_sel:[0,0,1] op_sel_hi:[1,1,0]
	v_pk_fma_f32 v[10:11], v[50:51], v[10:11], v[78:79] op_sel:[0,0,1] op_sel_hi:[1,0,0] neg_lo:[0,0,1] neg_hi:[0,0,1]
	v_pk_mul_f32 v[50:51], v[64:65], v[80:81] op_sel_hi:[1,0]
	v_mov_b32_e32 v76, v17
	s_waitcnt vmcnt(1)
	v_pk_mul_f32 v[82:83], v[18:19], v[26:27] op_sel:[0,1]
	v_mov_b32_e32 v59, v11
	v_pk_fma_f32 v[10:11], v[64:65], v[12:13], v[50:51] op_sel:[0,0,1] op_sel_hi:[1,1,0]
	v_pk_fma_f32 v[12:13], v[64:65], v[12:13], v[50:51] op_sel:[0,0,1] op_sel_hi:[1,0,0] neg_lo:[0,0,1] neg_hi:[0,0,1]
	v_pk_fma_f32 v[30:31], v[28:29], v[14:15], v[74:75] op_sel:[0,0,1] op_sel_hi:[1,1,0]
	v_pk_fma_f32 v[14:15], v[28:29], v[14:15], v[74:75] op_sel:[0,0,1] op_sel_hi:[1,0,0] neg_lo:[0,0,1] neg_hi:[0,0,1]
	v_pk_mul_f32 v[28:29], v[56:57], v[76:77] op_sel_hi:[1,0]
	v_mov_b32_e32 v85, v7
	v_pk_fma_f32 v[6:7], v[18:19], v[26:27], v[82:83] op_sel:[0,0,1] op_sel_hi:[1,1,0]
	v_mov_b32_e32 v11, v13
	v_pk_fma_f32 v[12:13], v[18:19], v[26:27], v[82:83] op_sel:[0,0,1] op_sel_hi:[1,0,0] neg_lo:[1,0,0] neg_hi:[1,0,0]
	v_mov_b32_e32 v31, v15
	v_pk_fma_f32 v[14:15], v[56:57], v[16:17], v[28:29] op_sel:[0,0,1] op_sel_hi:[1,1,0]
	v_pk_fma_f32 v[16:17], v[56:57], v[16:17], v[28:29] op_sel:[0,0,1] op_sel_hi:[1,0,0] neg_lo:[0,0,1] neg_hi:[0,0,1]
	v_mov_b32_e32 v7, v13
	v_pk_mul_f32 v[12:13], v[20:21], v[32:33] op_sel:[0,1]
	v_mov_b32_e32 v15, v17
	v_pk_fma_f32 v[16:17], v[20:21], v[32:33], v[12:13] op_sel:[0,0,1] op_sel_hi:[1,1,0]
	v_pk_fma_f32 v[12:13], v[20:21], v[32:33], v[12:13] op_sel:[0,0,1] op_sel_hi:[1,0,0] neg_lo:[1,0,0] neg_hi:[1,0,0]
	v_mov_b32_e32 v69, v9
	v_mov_b32_e32 v17, v13
	s_waitcnt vmcnt(0)
	v_pk_mul_f32 v[12:13], v[22:23], v[48:49] op_sel:[0,1]
	v_pk_add_f32 v[8:9], v[52:53], v[30:31]
	v_pk_fma_f32 v[18:19], v[22:23], v[48:49], v[12:13] op_sel:[0,0,1] op_sel_hi:[1,1,0]
	v_pk_fma_f32 v[12:13], v[22:23], v[48:49], v[12:13] op_sel:[0,0,1] op_sel_hi:[1,0,0] neg_lo:[1,0,0] neg_hi:[1,0,0]
	v_pk_add_f32 v[48:49], v[6:7], v[16:17] neg_lo:[0,1] neg_hi:[0,1]
	v_mov_b32_e32 v12, v25
	v_mov_b32_e32 v19, v13
	v_pk_mul_f32 v[12:13], v[62:63], v[12:13] op_sel_hi:[1,0]
	v_pk_add_f32 v[22:23], v[16:17], v[18:19]
	v_pk_fma_f32 v[20:21], v[62:63], v[24:25], v[12:13] op_sel:[0,0,1] op_sel_hi:[1,1,0]
	v_pk_fma_f32 v[12:13], v[62:63], v[24:25], v[12:13] op_sel:[0,0,1] op_sel_hi:[1,0,0] neg_lo:[0,0,1] neg_hi:[0,0,1]
	v_pk_fma_f32 v[22:23], v[22:23], 0.5, v[34:35] op_sel_hi:[1,0,1] neg_lo:[1,0,0] neg_hi:[1,0,0]
	v_mov_b32_e32 v21, v13
	v_pk_add_f32 v[24:25], v[6:7], v[20:21] neg_lo:[0,1] neg_hi:[0,1]
	v_pk_add_f32 v[28:29], v[16:17], v[18:19] neg_lo:[0,1] neg_hi:[0,1]
	v_pk_mul_f32 v[26:27], v[24:25], s[0:1] op_sel_hi:[1,0]
	v_pk_add_f32 v[50:51], v[20:21], v[18:19] neg_lo:[0,1] neg_hi:[0,1]
	v_pk_add_f32 v[12:13], v[34:35], v[6:7]
	v_pk_mul_f32 v[32:33], v[28:29], s[6:7] op_sel_hi:[1,0]
	v_pk_add_f32 v[48:49], v[48:49], v[50:51]
	v_pk_add_f32 v[50:51], v[22:23], v[26:27] op_sel:[0,1] op_sel_hi:[1,0] neg_lo:[0,1] neg_hi:[0,1]
	v_pk_add_f32 v[22:23], v[22:23], v[26:27] op_sel:[0,1] op_sel_hi:[1,0]
	v_pk_add_f32 v[12:13], v[12:13], v[16:17]
	v_pk_add_f32 v[22:23], v[22:23], v[32:33] op_sel:[0,1] op_sel_hi:[1,0]
	v_pk_add_f32 v[26:27], v[50:51], v[32:33] op_sel:[0,1] op_sel_hi:[1,0] neg_lo:[0,1] neg_hi:[0,1]
	v_pk_add_f32 v[12:13], v[12:13], v[18:19]
	v_mov_b32_e32 v32, v26
	v_mov_b32_e32 v33, v23
	v_pk_add_f32 v[12:13], v[12:13], v[20:21]
	v_pk_fma_f32 v[32:33], v[48:49], s[2:3], v[32:33] op_sel_hi:[1,0,1]
	ds_write2_b64 v77, v[12:13], v[32:33] offset1:10
	v_pk_add_f32 v[12:13], v[6:7], v[20:21]
	v_pk_add_f32 v[6:7], v[16:17], v[6:7] neg_lo:[0,1] neg_hi:[0,1]
	v_pk_add_f32 v[16:17], v[18:19], v[20:21] neg_lo:[0,1] neg_hi:[0,1]
	v_pk_fma_f32 v[12:13], v[12:13], 0.5, v[34:35] op_sel_hi:[1,0,1] neg_lo:[1,0,0] neg_hi:[1,0,0]
	v_pk_add_f32 v[6:7], v[6:7], v[16:17]
	v_pk_mul_f32 v[16:17], v[28:29], s[0:1] op_sel_hi:[1,0]
	v_pk_mul_f32 v[18:19], v[24:25], s[6:7] op_sel_hi:[1,0]
	v_pk_add_f32 v[20:21], v[12:13], v[16:17] op_sel:[0,1] op_sel_hi:[1,0]
	v_pk_add_f32 v[12:13], v[12:13], v[16:17] op_sel:[0,1] op_sel_hi:[1,0] neg_lo:[0,1] neg_hi:[0,1]
	v_pk_add_f32 v[16:17], v[20:21], v[18:19] op_sel:[0,1] op_sel_hi:[1,0] neg_lo:[0,1] neg_hi:[0,1]
	v_pk_add_f32 v[12:13], v[12:13], v[18:19] op_sel:[0,1] op_sel_hi:[1,0]
	v_mov_b32_e32 v18, v16
	v_mov_b32_e32 v19, v13
	;; [unrolled: 1-line block ×3, first 2 shown]
	v_pk_fma_f32 v[18:19], v[6:7], s[2:3], v[18:19] op_sel_hi:[1,0,1]
	v_pk_fma_f32 v[6:7], v[6:7], s[2:3], v[12:13] op_sel_hi:[1,0,1]
	v_mov_b32_e32 v23, v27
	ds_write2_b64 v77, v[18:19], v[6:7] offset0:20 offset1:30
	v_pk_fma_f32 v[6:7], v[48:49], s[2:3], v[22:23] op_sel_hi:[1,0,1]
	ds_write_b64 v77, v[6:7] offset:320
	v_pk_add_f32 v[6:7], v[14:15], v[58:59]
	v_pk_add_f32 v[12:13], v[30:31], v[10:11] neg_lo:[0,1] neg_hi:[0,1]
	v_pk_fma_f32 v[6:7], v[6:7], 0.5, v[52:53] op_sel_hi:[1,0,1] neg_lo:[1,0,0] neg_hi:[1,0,0]
	v_pk_mul_f32 v[16:17], v[12:13], s[0:1] op_sel_hi:[1,0]
	v_pk_add_f32 v[18:19], v[14:15], v[58:59] neg_lo:[0,1] neg_hi:[0,1]
	v_pk_add_f32 v[22:23], v[30:31], v[14:15] neg_lo:[0,1] neg_hi:[0,1]
	;; [unrolled: 1-line block ×3, first 2 shown]
	v_pk_mul_f32 v[20:21], v[18:19], s[6:7] op_sel_hi:[1,0]
	v_pk_add_f32 v[22:23], v[22:23], v[24:25]
	v_pk_add_f32 v[24:25], v[6:7], v[16:17] op_sel:[0,1] op_sel_hi:[1,0] neg_lo:[0,1] neg_hi:[0,1]
	v_pk_add_f32 v[6:7], v[6:7], v[16:17] op_sel:[0,1] op_sel_hi:[1,0]
	v_pk_add_f32 v[8:9], v[8:9], v[14:15]
	v_pk_add_f32 v[6:7], v[6:7], v[20:21] op_sel:[0,1] op_sel_hi:[1,0]
	v_pk_add_f32 v[16:17], v[24:25], v[20:21] op_sel:[0,1] op_sel_hi:[1,0] neg_lo:[0,1] neg_hi:[0,1]
	v_pk_add_f32 v[8:9], v[8:9], v[58:59]
	v_mov_b32_e32 v20, v16
	v_mov_b32_e32 v21, v7
	v_pk_add_f32 v[8:9], v[8:9], v[10:11]
	v_pk_fma_f32 v[20:21], v[22:23], s[2:3], v[20:21] op_sel_hi:[1,0,1]
	ds_write2_b64 v81, v[8:9], v[20:21] offset1:10
	v_pk_add_f32 v[8:9], v[30:31], v[10:11]
	v_pk_add_f32 v[14:15], v[14:15], v[30:31] neg_lo:[0,1] neg_hi:[0,1]
	v_pk_add_f32 v[10:11], v[58:59], v[10:11] neg_lo:[0,1] neg_hi:[0,1]
	v_pk_fma_f32 v[8:9], v[8:9], 0.5, v[52:53] op_sel_hi:[1,0,1] neg_lo:[1,0,0] neg_hi:[1,0,0]
	v_pk_add_f32 v[10:11], v[14:15], v[10:11]
	v_pk_mul_f32 v[14:15], v[18:19], s[0:1] op_sel_hi:[1,0]
	v_mov_b32_e32 v72, v3
	v_pk_mul_f32 v[12:13], v[12:13], s[6:7] op_sel_hi:[1,0]
	v_pk_add_f32 v[18:19], v[8:9], v[14:15] op_sel:[0,1] op_sel_hi:[1,0]
	v_pk_add_f32 v[8:9], v[8:9], v[14:15] op_sel:[0,1] op_sel_hi:[1,0] neg_lo:[0,1] neg_hi:[0,1]
	v_pk_fma_f32 v[40:41], v[60:61], v[0:1], v[70:71] op_sel:[0,0,1] op_sel_hi:[1,1,0]
	v_pk_fma_f32 v[0:1], v[60:61], v[0:1], v[70:71] op_sel:[0,0,1] op_sel_hi:[1,0,0] neg_lo:[0,0,1] neg_hi:[0,0,1]
	v_pk_mul_f32 v[60:61], v[66:67], v[72:73] op_sel_hi:[1,0]
	v_pk_add_f32 v[8:9], v[8:9], v[12:13] op_sel:[0,1] op_sel_hi:[1,0]
	v_pk_add_f32 v[12:13], v[18:19], v[12:13] op_sel:[0,1] op_sel_hi:[1,0] neg_lo:[0,1] neg_hi:[0,1]
	v_mov_b32_e32 v41, v1
	v_pk_fma_f32 v[0:1], v[66:67], v[2:3], v[60:61] op_sel:[0,0,1] op_sel_hi:[1,1,0]
	v_pk_fma_f32 v[2:3], v[66:67], v[2:3], v[60:61] op_sel:[0,0,1] op_sel_hi:[1,0,0] neg_lo:[0,0,1] neg_hi:[0,0,1]
	v_mov_b32_e32 v14, v12
	v_mov_b32_e32 v15, v9
	v_mov_b32_e32 v9, v13
	v_mov_b32_e32 v7, v17
	v_mov_b32_e32 v1, v3
	v_pk_fma_f32 v[14:15], v[10:11], s[2:3], v[14:15] op_sel_hi:[1,0,1]
	v_pk_fma_f32 v[8:9], v[10:11], s[2:3], v[8:9] op_sel_hi:[1,0,1]
	;; [unrolled: 1-line block ×3, first 2 shown]
	ds_write2_b64 v81, v[14:15], v[8:9] offset0:20 offset1:30
	ds_write_b64 v81, v[6:7] offset:320
	v_pk_add_f32 v[6:7], v[68:69], v[40:41]
	v_pk_add_f32 v[8:9], v[84:85], v[0:1] neg_lo:[0,1] neg_hi:[0,1]
	v_pk_fma_f32 v[6:7], v[6:7], 0.5, v[54:55] op_sel_hi:[1,0,1] neg_lo:[1,0,0] neg_hi:[1,0,0]
	v_pk_mul_f32 v[10:11], v[8:9], s[0:1] op_sel_hi:[1,0]
	v_pk_add_f32 v[12:13], v[68:69], v[40:41] neg_lo:[0,1] neg_hi:[0,1]
	v_pk_add_f32 v[16:17], v[84:85], v[68:69] neg_lo:[0,1] neg_hi:[0,1]
	;; [unrolled: 1-line block ×3, first 2 shown]
	v_pk_add_f32 v[2:3], v[54:55], v[84:85]
	v_pk_mul_f32 v[14:15], v[12:13], s[6:7] op_sel_hi:[1,0]
	v_pk_add_f32 v[16:17], v[16:17], v[18:19]
	v_pk_add_f32 v[18:19], v[6:7], v[10:11] op_sel:[0,1] op_sel_hi:[1,0] neg_lo:[0,1] neg_hi:[0,1]
	v_pk_add_f32 v[6:7], v[6:7], v[10:11] op_sel:[0,1] op_sel_hi:[1,0]
	v_pk_add_f32 v[2:3], v[2:3], v[68:69]
	v_pk_add_f32 v[6:7], v[6:7], v[14:15] op_sel:[0,1] op_sel_hi:[1,0]
	v_pk_add_f32 v[10:11], v[18:19], v[14:15] op_sel:[0,1] op_sel_hi:[1,0] neg_lo:[0,1] neg_hi:[0,1]
	v_pk_add_f32 v[2:3], v[2:3], v[40:41]
	v_mov_b32_e32 v14, v10
	v_mov_b32_e32 v15, v7
	v_pk_add_f32 v[2:3], v[2:3], v[0:1]
	v_pk_fma_f32 v[14:15], v[16:17], s[2:3], v[14:15] op_sel_hi:[1,0,1]
	ds_write2_b64 v47, v[2:3], v[14:15] offset1:10
	v_pk_add_f32 v[2:3], v[84:85], v[0:1]
	v_pk_add_f32 v[14:15], v[68:69], v[84:85] neg_lo:[0,1] neg_hi:[0,1]
	v_pk_fma_f32 v[2:3], v[2:3], 0.5, v[54:55] op_sel_hi:[1,0,1] neg_lo:[1,0,0] neg_hi:[1,0,0]
	v_pk_add_f32 v[0:1], v[40:41], v[0:1] neg_lo:[0,1] neg_hi:[0,1]
	v_pk_mul_f32 v[12:13], v[12:13], s[0:1] op_sel_hi:[1,0]
	v_pk_add_f32 v[0:1], v[14:15], v[0:1]
	v_pk_mul_f32 v[8:9], v[8:9], s[6:7] op_sel_hi:[1,0]
	v_pk_add_f32 v[14:15], v[2:3], v[12:13] op_sel:[0,1] op_sel_hi:[1,0]
	v_pk_add_f32 v[2:3], v[2:3], v[12:13] op_sel:[0,1] op_sel_hi:[1,0] neg_lo:[0,1] neg_hi:[0,1]
	v_mov_b32_e32 v7, v11
	v_pk_add_f32 v[2:3], v[2:3], v[8:9] op_sel:[0,1] op_sel_hi:[1,0]
	v_pk_add_f32 v[8:9], v[14:15], v[8:9] op_sel:[0,1] op_sel_hi:[1,0] neg_lo:[0,1] neg_hi:[0,1]
	v_mov_b32_e32 v13, v3
	v_mov_b32_e32 v12, v8
	;; [unrolled: 1-line block ×3, first 2 shown]
	v_pk_fma_f32 v[12:13], v[0:1], s[2:3], v[12:13] op_sel_hi:[1,0,1]
	v_pk_fma_f32 v[0:1], v[0:1], s[2:3], v[2:3] op_sel_hi:[1,0,1]
	ds_write2_b64 v47, v[12:13], v[0:1] offset0:20 offset1:30
	v_pk_fma_f32 v[0:1], v[16:17], s[2:3], v[6:7] op_sel_hi:[1,0,1]
	ds_write_b64 v47, v[0:1] offset:320
	v_lshlrev_b32_e32 v0, 1, v38
	v_mov_b32_e32 v1, 0
	v_lshl_add_u64 v[2:3], v[0:1], 3, s[4:5]
	v_add_u32_e32 v0, 20, v0
	v_lshl_add_u64 v[14:15], v[0:1], 3, s[4:5]
	s_waitcnt lgkmcnt(0)
	s_barrier
	global_load_dwordx4 v[6:9], v[14:15], off offset:320
	global_load_dwordx4 v[10:13], v[2:3], off offset:320
	v_add_u32_e32 v47, 0x78, v38
	v_mov_b32_e32 v0, 41
	v_mul_lo_u16_sdwa v14, v47, v0 dst_sel:DWORD dst_unused:UNUSED_PAD src0_sel:BYTE_0 src1_sel:DWORD
	v_add_u32_e32 v63, 0x5a, v38
	v_lshrrev_b16_e32 v14, 11, v14
	v_mul_lo_u16_sdwa v0, v63, v0 dst_sel:DWORD dst_unused:UNUSED_PAD src0_sel:BYTE_0 src1_sel:DWORD
	v_mul_lo_u16_e32 v14, 50, v14
	v_lshrrev_b16_e32 v64, 11, v0
	v_mov_b32_e32 v18, 4
	v_sub_u16_e32 v62, v47, v14
	v_mul_lo_u16_e32 v0, 50, v64
	v_lshlrev_b32_sdwa v14, v18, v62 dst_sel:DWORD dst_unused:UNUSED_PAD src0_sel:DWORD src1_sel:BYTE_0
	v_sub_u16_e32 v65, v63, v0
	global_load_dwordx4 v[14:17], v14, s[4:5] offset:320
	v_lshlrev_b32_sdwa v0, v18, v65 dst_sel:DWORD dst_unused:UNUSED_PAD src0_sel:DWORD src1_sel:BYTE_0
	global_load_dwordx4 v[18:21], v0, s[4:5] offset:320
	v_subrev_u32_e32 v0, 20, v38
	v_cmp_gt_u32_e64 s[0:1], 20, v38
	v_mov_b32_e32 v23, v1
	v_mov_b32_e32 v40, 0x4b0
	v_cndmask_b32_e64 v0, v0, v5, s[0:1]
	v_lshlrev_b32_e32 v22, 1, v0
	v_lshl_add_u64 v[22:23], v[22:23], 3, s[4:5]
	global_load_dwordx4 v[22:25], v[22:23], off offset:320
	ds_read2_b64 v[26:29], v39 offset0:150 offset1:180
	ds_read2_b64 v[30:33], v46 offset0:44 offset1:74
	ds_read2_b32 v[34:35], v45 offset0:164 offset1:165
	v_cmp_lt_u32_e64 s[0:1], 19, v38
	ds_read2_b64 v[48:51], v39 offset0:30 offset1:60
	ds_read2_b64 v[52:55], v46 offset0:104 offset1:134
	v_cndmask_b32_e64 v40, 0, v40, s[0:1]
	v_add_u32_e32 v40, 0, v40
	v_lshlrev_b32_e32 v0, 3, v0
	v_add3_u32 v66, v40, v0, v44
	s_waitcnt lgkmcnt(2)
	v_mov_b32_e32 v0, v35
	s_mov_b32 s0, 0x3f5db3d7
	s_movk_i32 s2, 0x4b0
	s_waitcnt vmcnt(4)
	v_pk_mul_f32 v[40:41], v[0:1], v[6:7] op_sel_hi:[0,1]
	v_pk_fma_f32 v[56:57], v[6:7], v[34:35], v[40:41] op_sel:[0,0,1] op_sel_hi:[1,1,0]
	v_pk_fma_f32 v[6:7], v[6:7], v[34:35], v[40:41] op_sel:[0,0,1] op_sel_hi:[1,0,0] neg_lo:[1,0,0] neg_hi:[1,0,0]
	v_mov_b32_e32 v0, v9
	v_mov_b32_e32 v57, v7
	s_waitcnt lgkmcnt(0)
	v_pk_mul_f32 v[6:7], v[52:53], v[0:1] op_sel_hi:[1,0]
	v_mad_u32_u24 v0, v64, s2, 0
	v_pk_fma_f32 v[34:35], v[52:53], v[8:9], v[6:7] op_sel:[0,0,1] op_sel_hi:[1,1,0]
	v_pk_fma_f32 v[6:7], v[52:53], v[8:9], v[6:7] op_sel:[0,0,1] op_sel_hi:[1,0,0] neg_lo:[0,0,1] neg_hi:[0,0,1]
	s_nop 0
	v_mov_b32_e32 v35, v7
	v_pk_add_f32 v[6:7], v[56:57], v[34:35]
	v_pk_add_f32 v[8:9], v[56:57], v[34:35] neg_lo:[0,1] neg_hi:[0,1]
	v_pk_fma_f32 v[6:7], v[6:7], 0.5, v[50:51] op_sel_hi:[1,0,1] neg_lo:[1,0,0] neg_hi:[1,0,0]
	v_pk_mul_f32 v[8:9], v[8:9], s[0:1] op_sel_hi:[1,0]
	s_nop 0
	v_pk_add_f32 v[40:41], v[6:7], v[8:9] op_sel:[0,1] op_sel_hi:[1,0]
	v_pk_add_f32 v[52:53], v[6:7], v[8:9] op_sel:[0,1] op_sel_hi:[1,0] neg_lo:[0,1] neg_hi:[0,1]
	s_waitcnt vmcnt(3)
	v_pk_mul_f32 v[6:7], v[10:11], v[26:27] op_sel:[0,1]
	s_nop 0
	v_pk_fma_f32 v[8:9], v[10:11], v[26:27], v[6:7] op_sel:[0,0,1] op_sel_hi:[1,1,0]
	v_pk_fma_f32 v[6:7], v[10:11], v[26:27], v[6:7] op_sel:[0,0,1] op_sel_hi:[1,0,0] neg_lo:[1,0,0] neg_hi:[1,0,0]
	ds_read_b64 v[10:11], v43
	v_mov_b32_e32 v9, v7
	v_pk_mul_f32 v[6:7], v[12:13], v[30:31] op_sel:[0,1]
	s_nop 0
	v_pk_fma_f32 v[26:27], v[12:13], v[30:31], v[6:7] op_sel:[0,0,1] op_sel_hi:[1,1,0]
	v_pk_fma_f32 v[6:7], v[12:13], v[30:31], v[6:7] op_sel:[0,0,1] op_sel_hi:[1,0,0] neg_lo:[1,0,0] neg_hi:[1,0,0]
	ds_read_b64 v[30:31], v39 offset:3360
	v_mov_b32_e32 v27, v7
	s_waitcnt lgkmcnt(1)
	v_pk_add_f32 v[6:7], v[10:11], v[8:9]
	s_nop 0
	v_pk_add_f32 v[58:59], v[6:7], v[26:27]
	v_pk_add_f32 v[6:7], v[8:9], v[26:27]
	v_pk_add_f32 v[8:9], v[8:9], v[26:27] neg_lo:[0,1] neg_hi:[0,1]
	v_pk_fma_f32 v[6:7], v[6:7], 0.5, v[10:11] op_sel_hi:[1,0,1] neg_lo:[1,0,0] neg_hi:[1,0,0]
	v_pk_mul_f32 v[8:9], v[8:9], s[0:1] op_sel_hi:[1,0]
	v_lshlrev_b32_sdwa v10, v73, v65 dst_sel:DWORD dst_unused:UNUSED_PAD src0_sel:DWORD src1_sel:BYTE_0
	v_pk_add_f32 v[26:27], v[6:7], v[8:9] op_sel:[0,1] op_sel_hi:[1,0] neg_lo:[0,1] neg_hi:[0,1]
	v_pk_add_f32 v[60:61], v[6:7], v[8:9] op_sel:[0,1] op_sel_hi:[1,0]
	v_pk_add_f32 v[6:7], v[50:51], v[56:57]
	v_add3_u32 v64, v0, v10, v44
	v_pk_add_f32 v[34:35], v[6:7], v[34:35]
	ds_read2_b64 v[6:9], v45 offset0:112 offset1:142
	v_lshlrev_b32_sdwa v0, v73, v62 dst_sel:DWORD dst_unused:UNUSED_PAD src0_sel:DWORD src1_sel:BYTE_0
	v_add3_u32 v44, 0, v0, v44
	s_waitcnt vmcnt(2)
	v_mov_b32_e32 v0, v17
	ds_read2_b64 v[10:13], v39 offset0:90 offset1:120
	s_waitcnt lgkmcnt(1)
	v_pk_mul_f32 v[50:51], v[8:9], v[14:15] op_sel:[0,1]
	s_waitcnt lgkmcnt(0)
	v_pk_fma_f32 v[56:57], v[8:9], v[14:15], v[50:51] op_sel:[0,0,1] op_sel_hi:[1,1,0]
	v_pk_fma_f32 v[8:9], v[8:9], v[14:15], v[50:51] op_sel:[0,0,1] op_sel_hi:[1,0,0] neg_lo:[0,0,1] neg_hi:[0,0,1]
	s_barrier
	v_mov_b32_e32 v57, v9
	v_pk_mul_f32 v[8:9], v[30:31], v[0:1] op_sel_hi:[1,0]
	s_waitcnt vmcnt(1)
	v_mov_b32_e32 v0, v21
	v_pk_fma_f32 v[14:15], v[30:31], v[16:17], v[8:9] op_sel:[0,0,1] op_sel_hi:[1,1,0]
	v_pk_fma_f32 v[8:9], v[30:31], v[16:17], v[8:9] op_sel:[0,0,1] op_sel_hi:[1,0,0] neg_lo:[0,0,1] neg_hi:[0,0,1]
	v_pk_mul_f32 v[16:17], v[6:7], v[18:19] op_sel:[0,1]
	s_nop 0
	v_pk_fma_f32 v[30:31], v[6:7], v[18:19], v[16:17] op_sel:[0,0,1] op_sel_hi:[1,1,0]
	v_pk_fma_f32 v[6:7], v[6:7], v[18:19], v[16:17] op_sel:[0,0,1] op_sel_hi:[1,0,0] neg_lo:[0,0,1] neg_hi:[0,0,1]
	s_waitcnt vmcnt(0)
	v_pk_mul_f32 v[18:19], v[22:23], v[28:29] op_sel:[0,1]
	v_mov_b32_e32 v31, v7
	v_pk_mul_f32 v[6:7], v[54:55], v[0:1] op_sel_hi:[1,0]
	v_mov_b32_e32 v15, v9
	v_pk_fma_f32 v[16:17], v[54:55], v[20:21], v[6:7] op_sel:[0,0,1] op_sel_hi:[1,1,0]
	v_pk_fma_f32 v[6:7], v[54:55], v[20:21], v[6:7] op_sel:[0,0,1] op_sel_hi:[1,0,0] neg_lo:[0,0,1] neg_hi:[0,0,1]
	v_pk_fma_f32 v[20:21], v[22:23], v[28:29], v[18:19] op_sel:[0,0,1] op_sel_hi:[1,1,0]
	v_pk_fma_f32 v[18:19], v[22:23], v[28:29], v[18:19] op_sel:[0,0,1] op_sel_hi:[1,0,0] neg_lo:[1,0,0] neg_hi:[1,0,0]
	v_mov_b32_e32 v17, v7
	v_mov_b32_e32 v21, v19
	v_pk_mul_f32 v[18:19], v[24:25], v[32:33] op_sel:[0,1]
	v_pk_add_f32 v[6:7], v[10:11], v[30:31]
	v_pk_fma_f32 v[22:23], v[24:25], v[32:33], v[18:19] op_sel:[0,0,1] op_sel_hi:[1,1,0]
	v_pk_fma_f32 v[18:19], v[24:25], v[32:33], v[18:19] op_sel:[0,0,1] op_sel_hi:[1,0,0] neg_lo:[1,0,0] neg_hi:[1,0,0]
	v_mov_b32_e32 v24, v26
	v_mov_b32_e32 v23, v19
	;; [unrolled: 1-line block ×3, first 2 shown]
	v_pk_add_f32 v[18:19], v[48:49], v[20:21]
	ds_write2_b64 v39, v[58:59], v[24:25] offset1:50
	v_pk_add_f32 v[24:25], v[20:21], v[22:23]
	v_pk_add_f32 v[20:21], v[20:21], v[22:23] neg_lo:[0,1] neg_hi:[0,1]
	v_pk_fma_f32 v[24:25], v[24:25], 0.5, v[48:49] op_sel_hi:[1,0,1] neg_lo:[1,0,0] neg_hi:[1,0,0]
	v_pk_mul_f32 v[20:21], v[20:21], s[0:1] op_sel_hi:[1,0]
	v_pk_add_f32 v[18:19], v[18:19], v[22:23]
	v_pk_add_f32 v[22:23], v[24:25], v[20:21] op_sel:[0,1] op_sel_hi:[1,0] neg_lo:[0,1] neg_hi:[0,1]
	v_pk_add_f32 v[20:21], v[24:25], v[20:21] op_sel:[0,1] op_sel_hi:[1,0]
	v_mov_b32_e32 v61, v27
	v_mov_b32_e32 v24, v22
	;; [unrolled: 1-line block ×3, first 2 shown]
	ds_write_b64 v39, v[60:61] offset:800
	ds_write2_b64 v66, v[18:19], v[24:25] offset1:50
	v_mov_b32_e32 v21, v23
	v_mov_b32_e32 v18, v52
	v_mov_b32_e32 v19, v41
	v_pk_add_f32 v[6:7], v[6:7], v[16:17]
	ds_write_b64 v66, v[20:21] offset:800
	ds_write2_b64 v39, v[34:35], v[18:19] offset0:160 offset1:210
	v_pk_add_f32 v[18:19], v[30:31], v[16:17]
	v_pk_add_f32 v[16:17], v[30:31], v[16:17] neg_lo:[0,1] neg_hi:[0,1]
	v_pk_fma_f32 v[10:11], v[18:19], 0.5, v[10:11] op_sel_hi:[1,0,1] neg_lo:[1,0,0] neg_hi:[1,0,0]
	v_pk_mul_f32 v[16:17], v[16:17], s[0:1] op_sel_hi:[1,0]
	v_mov_b32_e32 v41, v53
	v_pk_add_f32 v[18:19], v[10:11], v[16:17] op_sel:[0,1] op_sel_hi:[1,0] neg_lo:[0,1] neg_hi:[0,1]
	v_pk_add_f32 v[10:11], v[10:11], v[16:17] op_sel:[0,1] op_sel_hi:[1,0]
	v_mov_b32_e32 v16, v18
	v_mov_b32_e32 v17, v11
	;; [unrolled: 1-line block ×3, first 2 shown]
	ds_write_b64 v39, v[40:41] offset:2080
	ds_write2_b64 v64, v[6:7], v[16:17] offset1:50
	ds_write_b64 v64, v[10:11] offset:800
	v_pk_add_f32 v[6:7], v[56:57], v[14:15]
	v_pk_add_f32 v[10:11], v[56:57], v[14:15] neg_lo:[0,1] neg_hi:[0,1]
	v_pk_fma_f32 v[6:7], v[6:7], 0.5, v[12:13] op_sel_hi:[1,0,1] neg_lo:[1,0,0] neg_hi:[1,0,0]
	v_pk_mul_f32 v[10:11], v[10:11], s[0:1] op_sel_hi:[1,0]
	v_pk_add_f32 v[8:9], v[12:13], v[56:57]
	v_pk_add_f32 v[12:13], v[6:7], v[10:11] op_sel:[0,1] op_sel_hi:[1,0] neg_lo:[0,1] neg_hi:[0,1]
	v_pk_add_f32 v[6:7], v[6:7], v[10:11] op_sel:[0,1] op_sel_hi:[1,0]
	v_pk_add_f32 v[8:9], v[8:9], v[14:15]
	v_mov_b32_e32 v10, v12
	v_mov_b32_e32 v11, v7
	v_add_u32_e32 v0, 0x800, v44
	v_mov_b32_e32 v7, v13
	ds_write2_b64 v0, v[8:9], v[10:11] offset0:44 offset1:94
	ds_write_b64 v44, v[6:7] offset:3200
	s_waitcnt lgkmcnt(0)
	s_barrier
	global_load_dwordx4 v[6:9], v[2:3], off offset:1120
	v_lshlrev_b32_e32 v0, 1, v5
	v_lshl_add_u64 v[2:3], v[0:1], 3, s[4:5]
	global_load_dwordx4 v[10:13], v[2:3], off offset:1120
	v_lshlrev_b32_e32 v0, 1, v4
	v_lshl_add_u64 v[2:3], v[0:1], 3, s[4:5]
	;; [unrolled: 3-line block ×4, first 2 shown]
	global_load_dwordx4 v[18:21], v[18:19], off offset:1120
	ds_read2_b64 v[22:25], v39 offset0:150 offset1:180
	ds_read2_b64 v[26:29], v46 offset0:44 offset1:74
	ds_read2_b32 v[30:31], v45 offset0:164 offset1:165
	s_waitcnt lgkmcnt(0)
	v_mov_b32_e32 v0, v31
	s_waitcnt vmcnt(4)
	v_pk_mul_f32 v[32:33], v[6:7], v[22:23] op_sel:[0,1]
	s_nop 0
	v_pk_fma_f32 v[34:35], v[6:7], v[22:23], v[32:33] op_sel:[0,0,1] op_sel_hi:[1,1,0]
	v_pk_fma_f32 v[6:7], v[6:7], v[22:23], v[32:33] op_sel:[0,0,1] op_sel_hi:[1,0,0] neg_lo:[1,0,0] neg_hi:[1,0,0]
	ds_read_b64 v[32:33], v43
	v_mov_b32_e32 v35, v7
	v_pk_mul_f32 v[6:7], v[8:9], v[26:27] op_sel:[0,1]
	s_waitcnt vmcnt(3)
	v_pk_mul_f32 v[22:23], v[10:11], v[24:25] op_sel:[0,1]
	v_pk_fma_f32 v[40:41], v[8:9], v[26:27], v[6:7] op_sel:[0,0,1] op_sel_hi:[1,1,0]
	v_pk_fma_f32 v[6:7], v[8:9], v[26:27], v[6:7] op_sel:[0,0,1] op_sel_hi:[1,0,0] neg_lo:[1,0,0] neg_hi:[1,0,0]
	ds_read_b64 v[26:27], v39 offset:3360
	v_mov_b32_e32 v41, v7
	s_waitcnt lgkmcnt(1)
	v_pk_add_f32 v[6:7], v[32:33], v[34:35]
	v_pk_fma_f32 v[50:51], v[10:11], v[24:25], v[22:23] op_sel:[0,0,1] op_sel_hi:[1,1,0]
	v_pk_add_f32 v[48:49], v[6:7], v[40:41]
	ds_read2_b64 v[6:9], v39 offset0:30 offset1:60
	v_pk_fma_f32 v[10:11], v[10:11], v[24:25], v[22:23] op_sel:[0,0,1] op_sel_hi:[1,0,0] neg_lo:[1,0,0] neg_hi:[1,0,0]
	s_waitcnt vmcnt(2)
	v_pk_mul_f32 v[22:23], v[0:1], v[2:3] op_sel_hi:[0,1]
	v_mov_b32_e32 v51, v11
	v_pk_mul_f32 v[10:11], v[12:13], v[28:29] op_sel:[0,1]
	v_pk_fma_f32 v[54:55], v[2:3], v[30:31], v[22:23] op_sel:[0,0,1] op_sel_hi:[1,1,0]
	v_pk_fma_f32 v[52:53], v[12:13], v[28:29], v[10:11] op_sel:[0,0,1] op_sel_hi:[1,1,0]
	v_pk_fma_f32 v[10:11], v[12:13], v[28:29], v[10:11] op_sel:[0,0,1] op_sel_hi:[1,0,0] neg_lo:[1,0,0] neg_hi:[1,0,0]
	v_pk_fma_f32 v[2:3], v[2:3], v[30:31], v[22:23] op_sel:[0,0,1] op_sel_hi:[1,0,0] neg_lo:[1,0,0] neg_hi:[1,0,0]
	v_mov_b32_e32 v53, v11
	s_waitcnt lgkmcnt(0)
	v_pk_add_f32 v[10:11], v[6:7], v[50:51]
	v_mov_b32_e32 v0, v5
	v_pk_add_f32 v[28:29], v[10:11], v[52:53]
	ds_read2_b64 v[10:13], v46 offset0:104 offset1:134
	v_mov_b32_e32 v55, v3
	ds_read2_b64 v[22:25], v39 offset0:90 offset1:120
	s_waitcnt lgkmcnt(1)
	v_pk_mul_f32 v[2:3], v[10:11], v[0:1] op_sel_hi:[1,0]
	s_nop 0
	v_pk_fma_f32 v[30:31], v[10:11], v[4:5], v[2:3] op_sel:[0,0,1] op_sel_hi:[1,1,0]
	v_pk_fma_f32 v[10:11], v[10:11], v[4:5], v[2:3] op_sel:[0,0,1] op_sel_hi:[1,0,0] neg_lo:[0,0,1] neg_hi:[0,0,1]
	ds_read2_b64 v[2:5], v45 offset0:112 offset1:142
	s_waitcnt vmcnt(1)
	v_mov_b32_e32 v0, v17
	s_waitcnt lgkmcnt(0)
	s_barrier
	v_pk_mul_f32 v[56:57], v[2:3], v[14:15] op_sel:[0,1]
	v_mov_b32_e32 v31, v11
	v_pk_fma_f32 v[58:59], v[2:3], v[14:15], v[56:57] op_sel:[0,0,1] op_sel_hi:[1,1,0]
	v_pk_fma_f32 v[2:3], v[2:3], v[14:15], v[56:57] op_sel:[0,0,1] op_sel_hi:[1,0,0] neg_lo:[0,0,1] neg_hi:[0,0,1]
	v_pk_add_f32 v[10:11], v[8:9], v[54:55]
	v_mov_b32_e32 v59, v3
	v_pk_mul_f32 v[2:3], v[12:13], v[0:1] op_sel_hi:[1,0]
	s_waitcnt vmcnt(0)
	v_mov_b32_e32 v0, v21
	v_pk_fma_f32 v[14:15], v[12:13], v[16:17], v[2:3] op_sel:[0,0,1] op_sel_hi:[1,1,0]
	v_pk_fma_f32 v[2:3], v[12:13], v[16:17], v[2:3] op_sel:[0,0,1] op_sel_hi:[1,0,0] neg_lo:[0,0,1] neg_hi:[0,0,1]
	v_pk_mul_f32 v[12:13], v[4:5], v[18:19] op_sel:[0,1]
	v_mov_b32_e32 v15, v3
	v_pk_fma_f32 v[16:17], v[4:5], v[18:19], v[12:13] op_sel:[0,0,1] op_sel_hi:[1,1,0]
	v_pk_fma_f32 v[4:5], v[4:5], v[18:19], v[12:13] op_sel:[0,0,1] op_sel_hi:[1,0,0] neg_lo:[0,0,1] neg_hi:[0,0,1]
	v_pk_add_f32 v[18:19], v[34:35], v[40:41]
	v_mov_b32_e32 v17, v5
	v_pk_mul_f32 v[4:5], v[26:27], v[0:1] op_sel_hi:[1,0]
	v_pk_fma_f32 v[18:19], v[18:19], 0.5, v[32:33] op_sel_hi:[1,0,1] neg_lo:[1,0,0] neg_hi:[1,0,0]
	v_pk_fma_f32 v[12:13], v[26:27], v[20:21], v[4:5] op_sel:[0,0,1] op_sel_hi:[1,1,0]
	v_pk_fma_f32 v[4:5], v[26:27], v[20:21], v[4:5] op_sel:[0,0,1] op_sel_hi:[1,0,0] neg_lo:[0,0,1] neg_hi:[0,0,1]
	v_pk_add_f32 v[20:21], v[34:35], v[40:41] neg_lo:[0,1] neg_hi:[0,1]
	v_pk_add_f32 v[2:3], v[22:23], v[58:59]
	v_pk_mul_f32 v[20:21], v[20:21], s[0:1] op_sel_hi:[1,0]
	v_pk_add_f32 v[2:3], v[2:3], v[14:15]
	v_pk_add_f32 v[26:27], v[18:19], v[20:21] op_sel:[0,1] op_sel_hi:[1,0] neg_lo:[0,1] neg_hi:[0,1]
	v_pk_add_f32 v[18:19], v[18:19], v[20:21] op_sel:[0,1] op_sel_hi:[1,0]
	v_mov_b32_e32 v20, v26
	v_mov_b32_e32 v21, v19
	;; [unrolled: 1-line block ×3, first 2 shown]
	ds_write_b64 v39, v[18:19] offset:2400
	ds_write2_b64 v39, v[48:49], v[28:29] offset1:30
	v_pk_add_f32 v[18:19], v[50:51], v[52:53]
	v_pk_add_f32 v[10:11], v[10:11], v[30:31]
	v_pk_fma_f32 v[6:7], v[18:19], 0.5, v[6:7] op_sel_hi:[1,0,1] neg_lo:[1,0,0] neg_hi:[1,0,0]
	v_pk_add_f32 v[18:19], v[50:51], v[52:53] neg_lo:[0,1] neg_hi:[0,1]
	v_mov_b32_e32 v13, v5
	v_pk_mul_f32 v[18:19], v[18:19], s[0:1] op_sel_hi:[1,0]
	v_pk_add_f32 v[4:5], v[24:25], v[16:17]
	v_pk_add_f32 v[26:27], v[6:7], v[18:19] op_sel:[0,1] op_sel_hi:[1,0] neg_lo:[0,1] neg_hi:[0,1]
	v_pk_add_f32 v[6:7], v[6:7], v[18:19] op_sel:[0,1] op_sel_hi:[1,0]
	v_mov_b32_e32 v18, v26
	v_mov_b32_e32 v19, v7
	;; [unrolled: 1-line block ×3, first 2 shown]
	v_pk_add_f32 v[26:27], v[54:55], v[30:31]
	v_pk_add_f32 v[4:5], v[4:5], v[12:13]
	v_pk_fma_f32 v[8:9], v[26:27], 0.5, v[8:9] op_sel_hi:[1,0,1] neg_lo:[1,0,0] neg_hi:[1,0,0]
	v_pk_add_f32 v[26:27], v[54:55], v[30:31] neg_lo:[0,1] neg_hi:[0,1]
	s_nop 0
	v_pk_mul_f32 v[26:27], v[26:27], s[0:1] op_sel_hi:[1,0]
	s_nop 0
	v_pk_add_f32 v[28:29], v[8:9], v[26:27] op_sel:[0,1] op_sel_hi:[1,0] neg_lo:[0,1] neg_hi:[0,1]
	v_pk_add_f32 v[8:9], v[8:9], v[26:27] op_sel:[0,1] op_sel_hi:[1,0]
	v_mov_b32_e32 v26, v28
	v_mov_b32_e32 v27, v9
	;; [unrolled: 1-line block ×3, first 2 shown]
	ds_write2_b64 v39, v[18:19], v[26:27] offset0:180 offset1:210
	ds_write2_b64 v46, v[6:7], v[8:9] offset0:74 offset1:104
	;; [unrolled: 1-line block ×3, first 2 shown]
	v_pk_add_f32 v[2:3], v[58:59], v[14:15]
	v_pk_add_f32 v[6:7], v[58:59], v[14:15] neg_lo:[0,1] neg_hi:[0,1]
	v_pk_fma_f32 v[2:3], v[2:3], 0.5, v[22:23] op_sel_hi:[1,0,1] neg_lo:[1,0,0] neg_hi:[1,0,0]
	v_pk_mul_f32 v[6:7], v[6:7], s[0:1] op_sel_hi:[1,0]
	ds_write2_b64 v39, v[4:5], v[20:21] offset0:120 offset1:150
	v_pk_add_f32 v[8:9], v[2:3], v[6:7] op_sel:[0,1] op_sel_hi:[1,0] neg_lo:[0,1] neg_hi:[0,1]
	v_pk_add_f32 v[2:3], v[2:3], v[6:7] op_sel:[0,1] op_sel_hi:[1,0]
	v_mov_b32_e32 v6, v8
	v_mov_b32_e32 v7, v3
	;; [unrolled: 1-line block ×3, first 2 shown]
	v_pk_add_f32 v[4:5], v[16:17], v[12:13]
	v_pk_add_f32 v[8:9], v[16:17], v[12:13] neg_lo:[0,1] neg_hi:[0,1]
	v_pk_fma_f32 v[4:5], v[4:5], 0.5, v[24:25] op_sel_hi:[1,0,1] neg_lo:[1,0,0] neg_hi:[1,0,0]
	v_pk_mul_f32 v[8:9], v[8:9], s[0:1] op_sel_hi:[1,0]
	s_nop 0
	v_pk_add_f32 v[10:11], v[4:5], v[8:9] op_sel:[0,1] op_sel_hi:[1,0] neg_lo:[0,1] neg_hi:[0,1]
	v_pk_add_f32 v[4:5], v[4:5], v[8:9] op_sel:[0,1] op_sel_hi:[1,0]
	v_mov_b32_e32 v8, v10
	v_mov_b32_e32 v9, v5
	;; [unrolled: 1-line block ×3, first 2 shown]
	ds_write2_b64 v45, v[6:7], v[8:9] offset0:112 offset1:142
	ds_write2_b64 v46, v[2:3], v[4:5] offset0:134 offset1:164
	s_waitcnt lgkmcnt(0)
	s_barrier
	s_and_saveexec_b64 s[0:1], vcc
	s_cbranch_execz .LBB0_23
; %bb.22:
	v_lshl_add_u32 v12, v38, 3, v42
	ds_read2_b64 v[2:5], v12 offset1:30
	ds_read2_b64 v[6:9], v12 offset0:60 offset1:90
	v_mov_b32_e32 v39, v1
	v_add_u32_e32 v0, 30, v38
	v_lshl_add_u64 v[10:11], v[38:39], 3, v[36:37]
	s_waitcnt lgkmcnt(1)
	global_store_dwordx2 v[10:11], v[2:3], off
	v_lshl_add_u64 v[2:3], v[0:1], 3, v[36:37]
	v_add_u32_e32 v0, 60, v38
	global_store_dwordx2 v[2:3], v[4:5], off
	v_lshl_add_u64 v[2:3], v[0:1], 3, v[36:37]
	s_waitcnt lgkmcnt(0)
	global_store_dwordx2 v[2:3], v[6:7], off
	ds_read2_b64 v[2:5], v12 offset0:120 offset1:150
	v_add_u32_e32 v0, 0x5a, v38
	v_lshl_add_u64 v[6:7], v[0:1], 3, v[36:37]
	v_add_u32_e32 v0, 0x78, v38
	global_store_dwordx2 v[6:7], v[8:9], off
	v_lshl_add_u64 v[6:7], v[0:1], 3, v[36:37]
	s_waitcnt lgkmcnt(0)
	global_store_dwordx2 v[6:7], v[2:3], off
	ds_read2_b64 v[6:9], v12 offset0:180 offset1:210
	v_add_u32_e32 v0, 0x96, v38
	v_lshl_add_u64 v[2:3], v[0:1], 3, v[36:37]
	v_add_u32_e32 v0, 0xb4, v38
	global_store_dwordx2 v[2:3], v[4:5], off
	v_lshl_add_u64 v[2:3], v[0:1], 3, v[36:37]
	s_waitcnt lgkmcnt(0)
	global_store_dwordx2 v[2:3], v[6:7], off
	v_add_u32_e32 v2, 0x400, v12
	ds_read2_b64 v[2:5], v2 offset0:112 offset1:142
	v_add_u32_e32 v0, 0xd2, v38
	v_lshl_add_u64 v[6:7], v[0:1], 3, v[36:37]
	v_add_u32_e32 v0, 0xf0, v38
	global_store_dwordx2 v[6:7], v[8:9], off
	v_lshl_add_u64 v[6:7], v[0:1], 3, v[36:37]
	v_add_u32_e32 v10, 0x800, v12
	s_waitcnt lgkmcnt(0)
	global_store_dwordx2 v[6:7], v[2:3], off
	ds_read2_b64 v[6:9], v10 offset0:44 offset1:74
	v_add_u32_e32 v0, 0x10e, v38
	v_lshl_add_u64 v[2:3], v[0:1], 3, v[36:37]
	v_add_u32_e32 v0, 0x12c, v38
	global_store_dwordx2 v[2:3], v[4:5], off
	v_lshl_add_u64 v[2:3], v[0:1], 3, v[36:37]
	s_waitcnt lgkmcnt(0)
	global_store_dwordx2 v[2:3], v[6:7], off
	ds_read2_b64 v[2:5], v10 offset0:104 offset1:134
	v_add_u32_e32 v0, 0x14a, v38
	v_lshl_add_u64 v[6:7], v[0:1], 3, v[36:37]
	v_add_u32_e32 v0, 0x168, v38
	global_store_dwordx2 v[6:7], v[8:9], off
	v_lshl_add_u64 v[6:7], v[0:1], 3, v[36:37]
	s_waitcnt lgkmcnt(0)
	global_store_dwordx2 v[6:7], v[2:3], off
	ds_read_b64 v[2:3], v12 offset:3360
	v_add_u32_e32 v0, 0x186, v38
	v_lshl_add_u64 v[6:7], v[0:1], 3, v[36:37]
	v_add_u32_e32 v0, 0x1a4, v38
	v_lshl_add_u64 v[0:1], v[0:1], 3, v[36:37]
	global_store_dwordx2 v[6:7], v[4:5], off
	s_waitcnt lgkmcnt(0)
	global_store_dwordx2 v[0:1], v[2:3], off
.LBB0_23:
	s_endpgm
	.section	.rodata,"a",@progbits
	.p2align	6, 0x0
	.amdhsa_kernel fft_rtc_back_len450_factors_10_5_3_3_wgs_120_tpt_30_halfLds_sp_ip_CI_unitstride_sbrr_C2R_dirReg
		.amdhsa_group_segment_fixed_size 0
		.amdhsa_private_segment_fixed_size 0
		.amdhsa_kernarg_size 88
		.amdhsa_user_sgpr_count 2
		.amdhsa_user_sgpr_dispatch_ptr 0
		.amdhsa_user_sgpr_queue_ptr 0
		.amdhsa_user_sgpr_kernarg_segment_ptr 1
		.amdhsa_user_sgpr_dispatch_id 0
		.amdhsa_user_sgpr_kernarg_preload_length 0
		.amdhsa_user_sgpr_kernarg_preload_offset 0
		.amdhsa_user_sgpr_private_segment_size 0
		.amdhsa_uses_dynamic_stack 0
		.amdhsa_enable_private_segment 0
		.amdhsa_system_sgpr_workgroup_id_x 1
		.amdhsa_system_sgpr_workgroup_id_y 0
		.amdhsa_system_sgpr_workgroup_id_z 0
		.amdhsa_system_sgpr_workgroup_info 0
		.amdhsa_system_vgpr_workitem_id 0
		.amdhsa_next_free_vgpr 86
		.amdhsa_next_free_sgpr 22
		.amdhsa_accum_offset 88
		.amdhsa_reserve_vcc 1
		.amdhsa_float_round_mode_32 0
		.amdhsa_float_round_mode_16_64 0
		.amdhsa_float_denorm_mode_32 3
		.amdhsa_float_denorm_mode_16_64 3
		.amdhsa_dx10_clamp 1
		.amdhsa_ieee_mode 1
		.amdhsa_fp16_overflow 0
		.amdhsa_tg_split 0
		.amdhsa_exception_fp_ieee_invalid_op 0
		.amdhsa_exception_fp_denorm_src 0
		.amdhsa_exception_fp_ieee_div_zero 0
		.amdhsa_exception_fp_ieee_overflow 0
		.amdhsa_exception_fp_ieee_underflow 0
		.amdhsa_exception_fp_ieee_inexact 0
		.amdhsa_exception_int_div_zero 0
	.end_amdhsa_kernel
	.text
.Lfunc_end0:
	.size	fft_rtc_back_len450_factors_10_5_3_3_wgs_120_tpt_30_halfLds_sp_ip_CI_unitstride_sbrr_C2R_dirReg, .Lfunc_end0-fft_rtc_back_len450_factors_10_5_3_3_wgs_120_tpt_30_halfLds_sp_ip_CI_unitstride_sbrr_C2R_dirReg
                                        ; -- End function
	.section	.AMDGPU.csdata,"",@progbits
; Kernel info:
; codeLenInByte = 9072
; NumSgprs: 28
; NumVgprs: 86
; NumAgprs: 0
; TotalNumVgprs: 86
; ScratchSize: 0
; MemoryBound: 0
; FloatMode: 240
; IeeeMode: 1
; LDSByteSize: 0 bytes/workgroup (compile time only)
; SGPRBlocks: 3
; VGPRBlocks: 10
; NumSGPRsForWavesPerEU: 28
; NumVGPRsForWavesPerEU: 86
; AccumOffset: 88
; Occupancy: 5
; WaveLimiterHint : 1
; COMPUTE_PGM_RSRC2:SCRATCH_EN: 0
; COMPUTE_PGM_RSRC2:USER_SGPR: 2
; COMPUTE_PGM_RSRC2:TRAP_HANDLER: 0
; COMPUTE_PGM_RSRC2:TGID_X_EN: 1
; COMPUTE_PGM_RSRC2:TGID_Y_EN: 0
; COMPUTE_PGM_RSRC2:TGID_Z_EN: 0
; COMPUTE_PGM_RSRC2:TIDIG_COMP_CNT: 0
; COMPUTE_PGM_RSRC3_GFX90A:ACCUM_OFFSET: 21
; COMPUTE_PGM_RSRC3_GFX90A:TG_SPLIT: 0
	.text
	.p2alignl 6, 3212836864
	.fill 256, 4, 3212836864
	.type	__hip_cuid_fd4e19bf2ed7c92,@object ; @__hip_cuid_fd4e19bf2ed7c92
	.section	.bss,"aw",@nobits
	.globl	__hip_cuid_fd4e19bf2ed7c92
__hip_cuid_fd4e19bf2ed7c92:
	.byte	0                               ; 0x0
	.size	__hip_cuid_fd4e19bf2ed7c92, 1

	.ident	"AMD clang version 19.0.0git (https://github.com/RadeonOpenCompute/llvm-project roc-6.4.0 25133 c7fe45cf4b819c5991fe208aaa96edf142730f1d)"
	.section	".note.GNU-stack","",@progbits
	.addrsig
	.addrsig_sym __hip_cuid_fd4e19bf2ed7c92
	.amdgpu_metadata
---
amdhsa.kernels:
  - .agpr_count:     0
    .args:
      - .actual_access:  read_only
        .address_space:  global
        .offset:         0
        .size:           8
        .value_kind:     global_buffer
      - .offset:         8
        .size:           8
        .value_kind:     by_value
      - .actual_access:  read_only
        .address_space:  global
        .offset:         16
        .size:           8
        .value_kind:     global_buffer
      - .actual_access:  read_only
        .address_space:  global
        .offset:         24
        .size:           8
        .value_kind:     global_buffer
      - .offset:         32
        .size:           8
        .value_kind:     by_value
      - .actual_access:  read_only
        .address_space:  global
        .offset:         40
        .size:           8
        .value_kind:     global_buffer
      - .actual_access:  read_only
        .address_space:  global
        .offset:         48
        .size:           8
        .value_kind:     global_buffer
      - .offset:         56
        .size:           4
        .value_kind:     by_value
      - .actual_access:  read_only
        .address_space:  global
        .offset:         64
        .size:           8
        .value_kind:     global_buffer
      - .actual_access:  read_only
        .address_space:  global
        .offset:         72
        .size:           8
        .value_kind:     global_buffer
      - .address_space:  global
        .offset:         80
        .size:           8
        .value_kind:     global_buffer
    .group_segment_fixed_size: 0
    .kernarg_segment_align: 8
    .kernarg_segment_size: 88
    .language:       OpenCL C
    .language_version:
      - 2
      - 0
    .max_flat_workgroup_size: 120
    .name:           fft_rtc_back_len450_factors_10_5_3_3_wgs_120_tpt_30_halfLds_sp_ip_CI_unitstride_sbrr_C2R_dirReg
    .private_segment_fixed_size: 0
    .sgpr_count:     28
    .sgpr_spill_count: 0
    .symbol:         fft_rtc_back_len450_factors_10_5_3_3_wgs_120_tpt_30_halfLds_sp_ip_CI_unitstride_sbrr_C2R_dirReg.kd
    .uniform_work_group_size: 1
    .uses_dynamic_stack: false
    .vgpr_count:     86
    .vgpr_spill_count: 0
    .wavefront_size: 64
amdhsa.target:   amdgcn-amd-amdhsa--gfx950
amdhsa.version:
  - 1
  - 2
...

	.end_amdgpu_metadata
